;; amdgpu-corpus repo=ROCm/rocFFT kind=compiled arch=gfx1030 opt=O3
	.text
	.amdgcn_target "amdgcn-amd-amdhsa--gfx1030"
	.amdhsa_code_object_version 6
	.protected	fft_rtc_fwd_len2700_factors_3_10_10_3_3_wgs_90_tpt_90_halfLds_dp_op_CI_CI_sbrr_dirReg ; -- Begin function fft_rtc_fwd_len2700_factors_3_10_10_3_3_wgs_90_tpt_90_halfLds_dp_op_CI_CI_sbrr_dirReg
	.globl	fft_rtc_fwd_len2700_factors_3_10_10_3_3_wgs_90_tpt_90_halfLds_dp_op_CI_CI_sbrr_dirReg
	.p2align	8
	.type	fft_rtc_fwd_len2700_factors_3_10_10_3_3_wgs_90_tpt_90_halfLds_dp_op_CI_CI_sbrr_dirReg,@function
fft_rtc_fwd_len2700_factors_3_10_10_3_3_wgs_90_tpt_90_halfLds_dp_op_CI_CI_sbrr_dirReg: ; @fft_rtc_fwd_len2700_factors_3_10_10_3_3_wgs_90_tpt_90_halfLds_dp_op_CI_CI_sbrr_dirReg
; %bb.0:
	s_clause 0x2
	s_load_dwordx4 s[16:19], s[4:5], 0x18
	s_load_dwordx4 s[12:15], s[4:5], 0x0
	;; [unrolled: 1-line block ×3, first 2 shown]
	v_mul_u32_u24_e32 v2, 0x2d9, v0
	v_mov_b32_e32 v1, 0
	v_mov_b32_e32 v4, 0
	;; [unrolled: 1-line block ×3, first 2 shown]
	s_waitcnt lgkmcnt(0)
	s_load_dwordx2 s[20:21], s[16:17], 0x0
	s_load_dwordx2 s[2:3], s[18:19], 0x0
	v_cmp_lt_u64_e64 s0, s[14:15], 2
	v_add_nc_u32_sdwa v6, s6, v2 dst_sel:DWORD dst_unused:UNUSED_PAD src0_sel:DWORD src1_sel:WORD_1
	v_mov_b32_e32 v7, v1
	s_and_b32 vcc_lo, exec_lo, s0
	s_cbranch_vccnz .LBB0_8
; %bb.1:
	s_load_dwordx2 s[0:1], s[4:5], 0x10
	v_mov_b32_e32 v4, 0
	v_mov_b32_e32 v5, 0
	s_add_u32 s6, s18, 8
	s_addc_u32 s7, s19, 0
	s_add_u32 s22, s16, 8
	s_addc_u32 s23, s17, 0
	v_mov_b32_e32 v121, v5
	v_mov_b32_e32 v120, v4
	s_mov_b64 s[26:27], 1
	s_waitcnt lgkmcnt(0)
	s_add_u32 s24, s0, 8
	s_addc_u32 s25, s1, 0
.LBB0_2:                                ; =>This Inner Loop Header: Depth=1
	s_load_dwordx2 s[28:29], s[24:25], 0x0
                                        ; implicit-def: $vgpr122_vgpr123
	s_mov_b32 s0, exec_lo
	s_waitcnt lgkmcnt(0)
	v_or_b32_e32 v2, s29, v7
	v_cmpx_ne_u64_e32 0, v[1:2]
	s_xor_b32 s1, exec_lo, s0
	s_cbranch_execz .LBB0_4
; %bb.3:                                ;   in Loop: Header=BB0_2 Depth=1
	v_cvt_f32_u32_e32 v2, s28
	v_cvt_f32_u32_e32 v3, s29
	s_sub_u32 s0, 0, s28
	s_subb_u32 s30, 0, s29
	v_fmac_f32_e32 v2, 0x4f800000, v3
	v_rcp_f32_e32 v2, v2
	v_mul_f32_e32 v2, 0x5f7ffffc, v2
	v_mul_f32_e32 v3, 0x2f800000, v2
	v_trunc_f32_e32 v3, v3
	v_fmac_f32_e32 v2, 0xcf800000, v3
	v_cvt_u32_f32_e32 v3, v3
	v_cvt_u32_f32_e32 v2, v2
	v_mul_lo_u32 v8, s0, v3
	v_mul_hi_u32 v9, s0, v2
	v_mul_lo_u32 v10, s30, v2
	v_add_nc_u32_e32 v8, v9, v8
	v_mul_lo_u32 v9, s0, v2
	v_add_nc_u32_e32 v8, v8, v10
	v_mul_hi_u32 v10, v2, v9
	v_mul_lo_u32 v11, v2, v8
	v_mul_hi_u32 v12, v2, v8
	v_mul_hi_u32 v13, v3, v9
	v_mul_lo_u32 v9, v3, v9
	v_mul_hi_u32 v14, v3, v8
	v_mul_lo_u32 v8, v3, v8
	v_add_co_u32 v10, vcc_lo, v10, v11
	v_add_co_ci_u32_e32 v11, vcc_lo, 0, v12, vcc_lo
	v_add_co_u32 v9, vcc_lo, v10, v9
	v_add_co_ci_u32_e32 v9, vcc_lo, v11, v13, vcc_lo
	v_add_co_ci_u32_e32 v10, vcc_lo, 0, v14, vcc_lo
	v_add_co_u32 v8, vcc_lo, v9, v8
	v_add_co_ci_u32_e32 v9, vcc_lo, 0, v10, vcc_lo
	v_add_co_u32 v2, vcc_lo, v2, v8
	v_add_co_ci_u32_e32 v3, vcc_lo, v3, v9, vcc_lo
	v_mul_hi_u32 v8, s0, v2
	v_mul_lo_u32 v10, s30, v2
	v_mul_lo_u32 v9, s0, v3
	v_add_nc_u32_e32 v8, v8, v9
	v_mul_lo_u32 v9, s0, v2
	v_add_nc_u32_e32 v8, v8, v10
	v_mul_hi_u32 v10, v2, v9
	v_mul_lo_u32 v11, v2, v8
	v_mul_hi_u32 v12, v2, v8
	v_mul_hi_u32 v13, v3, v9
	v_mul_lo_u32 v9, v3, v9
	v_mul_hi_u32 v14, v3, v8
	v_mul_lo_u32 v8, v3, v8
	v_add_co_u32 v10, vcc_lo, v10, v11
	v_add_co_ci_u32_e32 v11, vcc_lo, 0, v12, vcc_lo
	v_add_co_u32 v9, vcc_lo, v10, v9
	v_add_co_ci_u32_e32 v9, vcc_lo, v11, v13, vcc_lo
	v_add_co_ci_u32_e32 v10, vcc_lo, 0, v14, vcc_lo
	v_add_co_u32 v8, vcc_lo, v9, v8
	v_add_co_ci_u32_e32 v9, vcc_lo, 0, v10, vcc_lo
	v_add_co_u32 v8, vcc_lo, v2, v8
	v_add_co_ci_u32_e32 v10, vcc_lo, v3, v9, vcc_lo
	v_mul_hi_u32 v12, v6, v8
	v_mad_u64_u32 v[8:9], null, v7, v8, 0
	v_mad_u64_u32 v[2:3], null, v6, v10, 0
	v_mad_u64_u32 v[10:11], null, v7, v10, 0
	v_add_co_u32 v2, vcc_lo, v12, v2
	v_add_co_ci_u32_e32 v3, vcc_lo, 0, v3, vcc_lo
	v_add_co_u32 v2, vcc_lo, v2, v8
	v_add_co_ci_u32_e32 v2, vcc_lo, v3, v9, vcc_lo
	v_add_co_ci_u32_e32 v3, vcc_lo, 0, v11, vcc_lo
	v_add_co_u32 v8, vcc_lo, v2, v10
	v_add_co_ci_u32_e32 v9, vcc_lo, 0, v3, vcc_lo
	v_mul_lo_u32 v10, s29, v8
	v_mad_u64_u32 v[2:3], null, s28, v8, 0
	v_mul_lo_u32 v11, s28, v9
	v_sub_co_u32 v2, vcc_lo, v6, v2
	v_add3_u32 v3, v3, v11, v10
	v_sub_nc_u32_e32 v10, v7, v3
	v_subrev_co_ci_u32_e64 v10, s0, s29, v10, vcc_lo
	v_add_co_u32 v11, s0, v8, 2
	v_add_co_ci_u32_e64 v12, s0, 0, v9, s0
	v_sub_co_u32 v13, s0, v2, s28
	v_sub_co_ci_u32_e32 v3, vcc_lo, v7, v3, vcc_lo
	v_subrev_co_ci_u32_e64 v10, s0, 0, v10, s0
	v_cmp_le_u32_e32 vcc_lo, s28, v13
	v_cmp_eq_u32_e64 s0, s29, v3
	v_cndmask_b32_e64 v13, 0, -1, vcc_lo
	v_cmp_le_u32_e32 vcc_lo, s29, v10
	v_cndmask_b32_e64 v14, 0, -1, vcc_lo
	v_cmp_le_u32_e32 vcc_lo, s28, v2
	;; [unrolled: 2-line block ×3, first 2 shown]
	v_cndmask_b32_e64 v15, 0, -1, vcc_lo
	v_cmp_eq_u32_e32 vcc_lo, s29, v10
	v_cndmask_b32_e64 v2, v15, v2, s0
	v_cndmask_b32_e32 v10, v14, v13, vcc_lo
	v_add_co_u32 v13, vcc_lo, v8, 1
	v_add_co_ci_u32_e32 v14, vcc_lo, 0, v9, vcc_lo
	v_cmp_ne_u32_e32 vcc_lo, 0, v10
	v_cndmask_b32_e32 v3, v14, v12, vcc_lo
	v_cndmask_b32_e32 v10, v13, v11, vcc_lo
	v_cmp_ne_u32_e32 vcc_lo, 0, v2
	v_cndmask_b32_e32 v123, v9, v3, vcc_lo
	v_cndmask_b32_e32 v122, v8, v10, vcc_lo
.LBB0_4:                                ;   in Loop: Header=BB0_2 Depth=1
	s_andn2_saveexec_b32 s0, s1
	s_cbranch_execz .LBB0_6
; %bb.5:                                ;   in Loop: Header=BB0_2 Depth=1
	v_cvt_f32_u32_e32 v2, s28
	s_sub_i32 s1, 0, s28
	v_mov_b32_e32 v123, v1
	v_rcp_iflag_f32_e32 v2, v2
	v_mul_f32_e32 v2, 0x4f7ffffe, v2
	v_cvt_u32_f32_e32 v2, v2
	v_mul_lo_u32 v3, s1, v2
	v_mul_hi_u32 v3, v2, v3
	v_add_nc_u32_e32 v2, v2, v3
	v_mul_hi_u32 v2, v6, v2
	v_mul_lo_u32 v3, v2, s28
	v_add_nc_u32_e32 v8, 1, v2
	v_sub_nc_u32_e32 v3, v6, v3
	v_subrev_nc_u32_e32 v9, s28, v3
	v_cmp_le_u32_e32 vcc_lo, s28, v3
	v_cndmask_b32_e32 v3, v3, v9, vcc_lo
	v_cndmask_b32_e32 v2, v2, v8, vcc_lo
	v_cmp_le_u32_e32 vcc_lo, s28, v3
	v_add_nc_u32_e32 v8, 1, v2
	v_cndmask_b32_e32 v122, v2, v8, vcc_lo
.LBB0_6:                                ;   in Loop: Header=BB0_2 Depth=1
	s_or_b32 exec_lo, exec_lo, s0
	v_mul_lo_u32 v8, v123, s28
	v_mul_lo_u32 v9, v122, s29
	s_load_dwordx2 s[0:1], s[22:23], 0x0
	v_mad_u64_u32 v[2:3], null, v122, s28, 0
	s_load_dwordx2 s[28:29], s[6:7], 0x0
	s_add_u32 s26, s26, 1
	s_addc_u32 s27, s27, 0
	s_add_u32 s6, s6, 8
	s_addc_u32 s7, s7, 0
	s_add_u32 s22, s22, 8
	v_add3_u32 v3, v3, v9, v8
	v_sub_co_u32 v2, vcc_lo, v6, v2
	s_addc_u32 s23, s23, 0
	s_add_u32 s24, s24, 8
	v_sub_co_ci_u32_e32 v3, vcc_lo, v7, v3, vcc_lo
	s_addc_u32 s25, s25, 0
	s_waitcnt lgkmcnt(0)
	v_mul_lo_u32 v6, s0, v3
	v_mul_lo_u32 v7, s1, v2
	v_mad_u64_u32 v[4:5], null, s0, v2, v[4:5]
	v_mul_lo_u32 v3, s28, v3
	v_mul_lo_u32 v8, s29, v2
	v_mad_u64_u32 v[120:121], null, s28, v2, v[120:121]
	v_cmp_ge_u64_e64 s0, s[26:27], s[14:15]
	v_add3_u32 v5, v7, v5, v6
	v_add3_u32 v121, v8, v121, v3
	s_and_b32 vcc_lo, exec_lo, s0
	s_cbranch_vccnz .LBB0_9
; %bb.7:                                ;   in Loop: Header=BB0_2 Depth=1
	v_mov_b32_e32 v6, v122
	v_mov_b32_e32 v7, v123
	s_branch .LBB0_2
.LBB0_8:
	v_mov_b32_e32 v121, v5
	v_mov_b32_e32 v123, v7
	;; [unrolled: 1-line block ×4, first 2 shown]
.LBB0_9:
	s_load_dwordx2 s[0:1], s[4:5], 0x28
	v_mul_hi_u32 v1, 0x2d82d83, v0
	s_lshl_b64 s[4:5], s[14:15], 3
                                        ; implicit-def: $vgpr160
                                        ; implicit-def: $vgpr187
                                        ; implicit-def: $vgpr188
                                        ; implicit-def: $vgpr161
                                        ; implicit-def: $vgpr162
                                        ; implicit-def: $vgpr163
                                        ; implicit-def: $vgpr164
                                        ; implicit-def: $vgpr165
                                        ; implicit-def: $vgpr166
                                        ; implicit-def: $vgpr169
	s_add_u32 s14, s18, s4
	s_addc_u32 s15, s19, s5
	s_waitcnt lgkmcnt(0)
	v_cmp_gt_u64_e32 vcc_lo, s[0:1], v[122:123]
	v_cmp_le_u64_e64 s0, s[0:1], v[122:123]
	s_and_saveexec_b32 s1, s0
	s_xor_b32 s0, exec_lo, s1
; %bb.10:
	v_mul_u32_u24_e32 v1, 0x5a, v1
                                        ; implicit-def: $vgpr4_vgpr5
	v_sub_nc_u32_e32 v160, v0, v1
                                        ; implicit-def: $vgpr1
                                        ; implicit-def: $vgpr0
	v_add_nc_u32_e32 v187, 0x5a, v160
	v_add_nc_u32_e32 v188, 0xb4, v160
	;; [unrolled: 1-line block ×9, first 2 shown]
; %bb.11:
	s_or_saveexec_b32 s1, s0
                                        ; implicit-def: $vgpr6_vgpr7
                                        ; implicit-def: $vgpr2_vgpr3
                                        ; implicit-def: $vgpr10_vgpr11
                                        ; implicit-def: $vgpr18_vgpr19
                                        ; implicit-def: $vgpr14_vgpr15
                                        ; implicit-def: $vgpr22_vgpr23
                                        ; implicit-def: $vgpr30_vgpr31
                                        ; implicit-def: $vgpr26_vgpr27
                                        ; implicit-def: $vgpr34_vgpr35
                                        ; implicit-def: $vgpr46_vgpr47
                                        ; implicit-def: $vgpr42_vgpr43
                                        ; implicit-def: $vgpr38_vgpr39
                                        ; implicit-def: $vgpr54_vgpr55
                                        ; implicit-def: $vgpr58_vgpr59
                                        ; implicit-def: $vgpr50_vgpr51
                                        ; implicit-def: $vgpr66_vgpr67
                                        ; implicit-def: $vgpr62_vgpr63
                                        ; implicit-def: $vgpr70_vgpr71
                                        ; implicit-def: $vgpr82_vgpr83
                                        ; implicit-def: $vgpr78_vgpr79
                                        ; implicit-def: $vgpr74_vgpr75
                                        ; implicit-def: $vgpr90_vgpr91
                                        ; implicit-def: $vgpr94_vgpr95
                                        ; implicit-def: $vgpr86_vgpr87
                                        ; implicit-def: $vgpr102_vgpr103
                                        ; implicit-def: $vgpr114_vgpr115
                                        ; implicit-def: $vgpr98_vgpr99
                                        ; implicit-def: $vgpr110_vgpr111
                                        ; implicit-def: $vgpr118_vgpr119
                                        ; implicit-def: $vgpr106_vgpr107
	s_xor_b32 exec_lo, exec_lo, s1
	s_cbranch_execz .LBB0_13
; %bb.12:
	s_add_u32 s4, s16, s4
	s_addc_u32 s5, s17, s5
	v_mul_u32_u24_e32 v1, 0x5a, v1
	s_load_dwordx2 s[4:5], s[4:5], 0x0
	v_lshlrev_b64 v[2:3], 4, v[4:5]
	v_sub_nc_u32_e32 v160, v0, v1
	v_add_nc_u32_e32 v13, 0x384, v160
	v_add_nc_u32_e32 v16, 0x708, v160
	v_mad_u64_u32 v[0:1], null, s20, v160, 0
	v_add_nc_u32_e32 v187, 0x5a, v160
	v_mad_u64_u32 v[4:5], null, s20, v13, 0
	v_mad_u64_u32 v[6:7], null, s20, v16, 0
	v_add_nc_u32_e32 v18, 0x3de, v160
	v_mad_u64_u32 v[10:11], null, s21, v160, v[1:2]
	s_waitcnt lgkmcnt(0)
	v_mul_lo_u32 v14, s5, v122
	v_mul_lo_u32 v15, s4, v123
	v_mad_u64_u32 v[8:9], null, s4, v122, 0
	v_mov_b32_e32 v1, v5
	v_mad_u64_u32 v[11:12], null, s20, v187, 0
	v_mov_b32_e32 v5, v7
	v_add_nc_u32_e32 v188, 0xb4, v160
	v_add_nc_u32_e32 v22, 0x438, v160
	v_add3_u32 v9, v9, v15, v14
	v_mad_u64_u32 v[13:14], null, s21, v13, v[1:2]
	v_mov_b32_e32 v1, v10
	v_mad_u64_u32 v[14:15], null, s20, v18, 0
	v_lshlrev_b64 v[7:8], 4, v[8:9]
	v_mad_u64_u32 v[9:10], null, s21, v16, v[5:6]
	v_mov_b32_e32 v10, v12
	v_mov_b32_e32 v5, v13
	v_lshlrev_b64 v[0:1], 4, v[0:1]
	v_add_co_u32 v12, s0, s8, v7
	v_add_co_ci_u32_e64 v8, s0, s9, v8, s0
	v_mov_b32_e32 v7, v9
	v_add_co_u32 v20, s0, v12, v2
	v_add_co_ci_u32_e64 v21, s0, v8, v3, s0
	v_lshlrev_b64 v[2:3], 4, v[4:5]
	v_mad_u64_u32 v[4:5], null, s21, v187, v[10:11]
	v_add_nc_u32_e32 v10, 0x762, v160
	v_lshlrev_b64 v[5:6], 4, v[6:7]
	v_mov_b32_e32 v7, v15
	v_add_co_u32 v0, s0, v20, v0
	v_mad_u64_u32 v[16:17], null, s20, v10, 0
	v_add_co_ci_u32_e64 v1, s0, v21, v1, s0
	v_mov_b32_e32 v12, v4
	v_mad_u64_u32 v[7:8], null, s21, v18, v[7:8]
	v_add_co_u32 v2, s0, v20, v2
	v_add_co_ci_u32_e64 v3, s0, v21, v3, s0
	v_add_co_u32 v4, s0, v20, v5
	v_lshlrev_b64 v[8:9], 4, v[11:12]
	v_add_co_ci_u32_e64 v5, s0, v21, v6, s0
	v_mov_b32_e32 v6, v17
	v_mad_u64_u32 v[12:13], null, s20, v188, 0
	v_mov_b32_e32 v15, v7
	v_add_nc_u32_e32 v24, 0x7bc, v160
	v_mad_u64_u32 v[10:11], null, s21, v10, v[6:7]
	v_add_co_u32 v6, s0, v20, v8
	v_add_co_ci_u32_e64 v7, s0, v21, v9, s0
	v_lshlrev_b64 v[8:9], 4, v[14:15]
	v_mad_u64_u32 v[14:15], null, s20, v22, 0
	v_mov_b32_e32 v11, v13
	v_mov_b32_e32 v17, v10
	v_mad_u64_u32 v[18:19], null, s20, v24, 0
	v_add_co_u32 v8, s0, v20, v8
	v_mad_u64_u32 v[10:11], null, s21, v188, v[11:12]
	v_mov_b32_e32 v11, v15
	v_lshlrev_b64 v[16:17], 4, v[16:17]
	v_add_co_ci_u32_e64 v9, s0, v21, v9, s0
	v_add_nc_u32_e32 v161, 0x10e, v160
	v_mad_u64_u32 v[22:23], null, s21, v22, v[11:12]
	v_mov_b32_e32 v13, v10
	v_add_co_u32 v10, s0, v20, v16
	v_mov_b32_e32 v16, v19
	v_add_co_ci_u32_e64 v11, s0, v21, v17, s0
	v_mov_b32_e32 v15, v22
	v_mad_u64_u32 v[22:23], null, s20, v161, 0
	v_mad_u64_u32 v[16:17], null, s21, v24, v[16:17]
	v_add_nc_u32_e32 v28, 0x492, v160
	v_lshlrev_b64 v[12:13], 4, v[12:13]
	v_add_nc_u32_e32 v30, 0x816, v160
	v_lshlrev_b64 v[14:15], 4, v[14:15]
	v_mov_b32_e32 v17, v23
	v_mad_u64_u32 v[24:25], null, s20, v28, 0
	v_mov_b32_e32 v19, v16
	v_add_co_u32 v12, s0, v20, v12
	v_mad_u64_u32 v[16:17], null, s21, v161, v[17:18]
	v_lshlrev_b64 v[17:18], 4, v[18:19]
	v_mov_b32_e32 v19, v25
	v_mad_u64_u32 v[26:27], null, s20, v30, 0
	v_add_nc_u32_e32 v162, 0x168, v160
	v_add_co_ci_u32_e64 v13, s0, v21, v13, s0
	v_mad_u64_u32 v[28:29], null, s21, v28, v[19:20]
	v_add_co_u32 v14, s0, v20, v14
	v_mov_b32_e32 v23, v16
	v_add_co_ci_u32_e64 v15, s0, v21, v15, s0
	v_add_co_u32 v16, s0, v20, v17
	v_mov_b32_e32 v25, v28
	v_mad_u64_u32 v[28:29], null, s20, v162, 0
	v_add_co_ci_u32_e64 v17, s0, v21, v18, s0
	v_lshlrev_b64 v[18:19], 4, v[22:23]
	v_mov_b32_e32 v22, v27
	v_add_nc_u32_e32 v34, 0x4ec, v160
	v_add_nc_u32_e32 v36, 0x870, v160
	v_add_nc_u32_e32 v163, 0x1c2, v160
	v_add_nc_u32_e32 v40, 0x546, v160
	v_mad_u64_u32 v[22:23], null, s21, v30, v[22:23]
	v_lshlrev_b64 v[23:24], 4, v[24:25]
	v_mov_b32_e32 v25, v29
	v_mad_u64_u32 v[30:31], null, s20, v34, 0
	v_add_co_u32 v18, s0, v20, v18
	v_mad_u64_u32 v[32:33], null, s21, v162, v[25:26]
	v_mov_b32_e32 v27, v22
	v_add_co_ci_u32_e64 v19, s0, v21, v19, s0
	v_add_co_u32 v22, s0, v20, v23
	v_add_co_ci_u32_e64 v23, s0, v21, v24, s0
	v_mov_b32_e32 v29, v32
	v_mad_u64_u32 v[32:33], null, s20, v36, 0
	v_lshlrev_b64 v[24:25], 4, v[26:27]
	v_mov_b32_e32 v26, v31
	v_add_nc_u32_e32 v42, 0x8ca, v160
	v_add_nc_u32_e32 v164, 0x21c, v160
	;; [unrolled: 1-line block ×4, first 2 shown]
	v_mad_u64_u32 v[26:27], null, s21, v34, v[26:27]
	v_lshlrev_b64 v[27:28], 4, v[28:29]
	v_mov_b32_e32 v29, v33
	v_mad_u64_u32 v[34:35], null, s20, v163, 0
	v_add_co_u32 v24, s0, v20, v24
	v_mad_u64_u32 v[36:37], null, s21, v36, v[29:30]
	v_mov_b32_e32 v31, v26
	v_add_co_ci_u32_e64 v25, s0, v21, v25, s0
	v_add_co_u32 v26, s0, v20, v27
	v_add_co_ci_u32_e64 v27, s0, v21, v28, s0
	v_mov_b32_e32 v33, v36
	v_mad_u64_u32 v[36:37], null, s20, v40, 0
	v_lshlrev_b64 v[28:29], 4, v[30:31]
	v_mov_b32_e32 v30, v35
	v_mad_u64_u32 v[38:39], null, s20, v42, 0
	v_add_nc_u32_e32 v165, 0x276, v160
	v_add_nc_u32_e32 v52, 0x5fa, v160
	v_mad_u64_u32 v[30:31], null, s21, v163, v[30:31]
	v_lshlrev_b64 v[31:32], 4, v[32:33]
	v_mov_b32_e32 v33, v37
	v_add_co_u32 v28, s0, v20, v28
	v_add_co_ci_u32_e64 v29, s0, v21, v29, s0
	v_mad_u64_u32 v[40:41], null, s21, v40, v[33:34]
	v_mov_b32_e32 v35, v30
	v_add_co_u32 v30, s0, v20, v31
	v_add_co_ci_u32_e64 v31, s0, v21, v32, s0
	v_lshlrev_b64 v[32:33], 4, v[34:35]
	v_mov_b32_e32 v37, v40
	v_mad_u64_u32 v[40:41], null, s20, v164, 0
	v_mov_b32_e32 v34, v39
	v_add_nc_u32_e32 v54, 0x97e, v160
	v_add_co_u32 v32, s0, v20, v32
	v_add_co_ci_u32_e64 v33, s0, v21, v33, s0
	v_mad_u64_u32 v[34:35], null, s21, v42, v[34:35]
	v_lshlrev_b64 v[35:36], 4, v[36:37]
	v_mov_b32_e32 v37, v41
	v_mad_u64_u32 v[42:43], null, s20, v46, 0
	v_mad_u64_u32 v[50:51], null, s20, v54, 0
	;; [unrolled: 1-line block ×3, first 2 shown]
	v_mov_b32_e32 v39, v34
	v_add_co_u32 v34, s0, v20, v35
	v_add_co_ci_u32_e64 v35, s0, v21, v36, s0
	v_lshlrev_b64 v[36:37], 4, v[38:39]
	v_mov_b32_e32 v41, v44
	v_mad_u64_u32 v[44:45], null, s20, v48, 0
	v_mov_b32_e32 v38, v43
	v_add_nc_u32_e32 v166, 0x2d0, v160
	v_lshlrev_b64 v[40:41], 4, v[40:41]
	v_add_co_u32 v36, s0, v20, v36
	v_mad_u64_u32 v[38:39], null, s21, v46, v[38:39]
	v_mov_b32_e32 v39, v45
	v_mad_u64_u32 v[46:47], null, s20, v165, 0
	v_add_co_ci_u32_e64 v37, s0, v21, v37, s0
	v_mad_u64_u32 v[48:49], null, s21, v48, v[39:40]
	v_mov_b32_e32 v43, v38
	v_add_co_u32 v38, s0, v20, v40
	v_add_co_ci_u32_e64 v39, s0, v21, v41, s0
	v_lshlrev_b64 v[40:41], 4, v[42:43]
	v_mov_b32_e32 v42, v47
	v_mov_b32_e32 v45, v48
	v_mad_u64_u32 v[48:49], null, s20, v52, 0
	v_add_nc_u32_e32 v56, 0x654, v160
	v_mad_u64_u32 v[42:43], null, s21, v165, v[42:43]
	v_lshlrev_b64 v[43:44], 4, v[44:45]
	v_add_co_u32 v40, s0, v20, v40
	v_mov_b32_e32 v45, v49
	v_add_co_ci_u32_e64 v41, s0, v21, v41, s0
	v_mov_b32_e32 v47, v42
	v_mov_b32_e32 v42, v51
	v_mad_u64_u32 v[51:52], null, s21, v52, v[45:46]
	v_mad_u64_u32 v[52:53], null, s20, v166, 0
	;; [unrolled: 1-line block ×3, first 2 shown]
	v_add_co_u32 v124, s0, v20, v43
	v_add_co_ci_u32_e64 v125, s0, v21, v44, s0
	v_mov_b32_e32 v44, v53
	v_lshlrev_b64 v[42:43], 4, v[46:47]
	v_mov_b32_e32 v49, v51
	v_mov_b32_e32 v51, v54
	v_add_nc_u32_e32 v57, 0x9d8, v160
	v_mad_u64_u32 v[44:45], null, s21, v166, v[44:45]
	v_add_co_u32 v126, s0, v20, v42
	v_mad_u64_u32 v[45:46], null, s20, v56, 0
	v_add_co_ci_u32_e64 v127, s0, v21, v43, s0
	v_lshlrev_b64 v[42:43], 4, v[48:49]
	v_lshlrev_b64 v[47:48], 4, v[50:51]
	v_mad_u64_u32 v[54:55], null, s20, v57, 0
	v_mov_b32_e32 v53, v44
	v_add_nc_u32_e32 v169, 0x32a, v160
	v_add_co_u32 v128, s0, v20, v42
	v_mad_u64_u32 v[50:51], null, s21, v56, v[46:47]
	v_add_co_ci_u32_e64 v129, s0, v21, v43, s0
	v_lshlrev_b64 v[42:43], 4, v[52:53]
	v_mad_u64_u32 v[51:52], null, s20, v169, 0
	v_mov_b32_e32 v49, v55
	v_add_nc_u32_e32 v58, 0x6ae, v160
	v_add_nc_u32_e32 v53, 0xa32, v160
	v_add_co_u32 v130, s0, v20, v47
	v_mad_u64_u32 v[55:56], null, s21, v57, v[49:50]
	v_mad_u64_u32 v[56:57], null, s20, v58, 0
	v_mov_b32_e32 v44, v52
	v_add_co_ci_u32_e64 v131, s0, v21, v48, s0
	v_mov_b32_e32 v46, v50
	v_add_co_u32 v132, s0, v20, v42
	v_mad_u64_u32 v[48:49], null, s21, v169, v[44:45]
	v_mad_u64_u32 v[49:50], null, s20, v53, 0
	v_mov_b32_e32 v47, v57
	v_add_co_ci_u32_e64 v133, s0, v21, v43, s0
	v_lshlrev_b64 v[42:43], 4, v[45:46]
	v_mov_b32_e32 v52, v48
	v_mad_u64_u32 v[46:47], null, s21, v58, v[47:48]
	v_mov_b32_e32 v47, v50
	v_lshlrev_b64 v[44:45], 4, v[54:55]
	v_add_co_u32 v134, s0, v20, v42
	v_add_co_ci_u32_e64 v135, s0, v21, v43, s0
	v_mad_u64_u32 v[42:43], null, s21, v53, v[47:48]
	v_mov_b32_e32 v57, v46
	v_lshlrev_b64 v[46:47], 4, v[51:52]
	v_add_co_u32 v136, s0, v20, v44
	v_add_co_ci_u32_e64 v137, s0, v21, v45, s0
	v_mov_b32_e32 v50, v42
	v_lshlrev_b64 v[43:44], 4, v[56:57]
	v_add_co_u32 v138, s0, v20, v46
	v_add_co_ci_u32_e64 v139, s0, v21, v47, s0
	v_lshlrev_b64 v[45:46], 4, v[49:50]
	v_add_co_u32 v140, s0, v20, v43
	v_add_co_ci_u32_e64 v141, s0, v21, v44, s0
	v_add_co_u32 v142, s0, v20, v45
	v_add_co_ci_u32_e64 v143, s0, v21, v46, s0
	s_clause 0x1d
	global_load_dwordx4 v[104:107], v[0:1], off
	global_load_dwordx4 v[116:119], v[2:3], off
	global_load_dwordx4 v[108:111], v[4:5], off
	global_load_dwordx4 v[96:99], v[6:7], off
	global_load_dwordx4 v[112:115], v[8:9], off
	global_load_dwordx4 v[100:103], v[10:11], off
	global_load_dwordx4 v[84:87], v[12:13], off
	global_load_dwordx4 v[92:95], v[14:15], off
	global_load_dwordx4 v[88:91], v[16:17], off
	global_load_dwordx4 v[72:75], v[18:19], off
	global_load_dwordx4 v[76:79], v[22:23], off
	global_load_dwordx4 v[80:83], v[24:25], off
	global_load_dwordx4 v[68:71], v[26:27], off
	global_load_dwordx4 v[60:63], v[28:29], off
	global_load_dwordx4 v[64:67], v[30:31], off
	global_load_dwordx4 v[48:51], v[32:33], off
	global_load_dwordx4 v[56:59], v[34:35], off
	global_load_dwordx4 v[52:55], v[36:37], off
	global_load_dwordx4 v[36:39], v[38:39], off
	global_load_dwordx4 v[40:43], v[40:41], off
	global_load_dwordx4 v[44:47], v[124:125], off
	global_load_dwordx4 v[32:35], v[126:127], off
	global_load_dwordx4 v[24:27], v[128:129], off
	global_load_dwordx4 v[28:31], v[130:131], off
	global_load_dwordx4 v[20:23], v[132:133], off
	global_load_dwordx4 v[12:15], v[134:135], off
	global_load_dwordx4 v[16:19], v[136:137], off
	global_load_dwordx4 v[8:11], v[138:139], off
	global_load_dwordx4 v[0:3], v[140:141], off
	global_load_dwordx4 v[4:7], v[142:143], off
.LBB0_13:
	s_or_b32 exec_lo, exec_lo, s1
	s_waitcnt vmcnt(28)
	v_add_f64 v[126:127], v[118:119], v[106:107]
	v_add_f64 v[124:125], v[116:117], v[104:105]
	s_waitcnt vmcnt(27)
	v_add_f64 v[128:129], v[108:109], v[116:117]
	v_add_f64 v[130:131], v[110:111], v[118:119]
	s_waitcnt vmcnt(25)
	v_add_f64 v[134:135], v[114:115], v[98:99]
	s_waitcnt vmcnt(24)
	;; [unrolled: 2-line block ×3, first 2 shown]
	v_add_f64 v[146:147], v[90:91], v[94:95]
	v_add_f64 v[132:133], v[112:113], v[96:97]
	;; [unrolled: 1-line block ×4, first 2 shown]
	v_add_f64 v[118:119], v[118:119], -v[110:111]
	v_add_f64 v[116:117], v[116:117], -v[108:109]
	v_add_f64 v[138:139], v[102:103], v[114:115]
	v_add_f64 v[114:115], v[114:115], -v[102:103]
	s_waitcnt vmcnt(19)
	v_add_f64 v[148:149], v[76:77], v[72:73]
	v_add_f64 v[144:145], v[88:89], v[92:93]
	v_add_f64 v[112:113], v[112:113], -v[100:101]
	v_add_f64 v[94:95], v[94:95], -v[90:91]
	v_add_f64 v[92:93], v[92:93], -v[88:89]
	v_add_f64 v[150:151], v[78:79], v[74:75]
	s_mov_b32 s4, 0xe8584caa
	s_mov_b32 s5, 0x3febb67a
	v_add_f64 v[110:111], v[110:111], v[126:127]
	s_waitcnt vmcnt(18)
	v_add_f64 v[126:127], v[82:83], v[78:79]
	v_add_f64 v[108:109], v[108:109], v[124:125]
	;; [unrolled: 1-line block ×3, first 2 shown]
	v_fma_f64 v[104:105], v[128:129], -0.5, v[104:105]
	v_fma_f64 v[106:107], v[130:131], -0.5, v[106:107]
	v_add_f64 v[102:103], v[102:103], v[134:135]
	v_fma_f64 v[96:97], v[136:137], -0.5, v[96:97]
	s_waitcnt vmcnt(15)
	v_add_f64 v[128:129], v[64:65], v[60:61]
	v_add_f64 v[130:131], v[66:67], v[62:63]
	;; [unrolled: 1-line block ×3, first 2 shown]
	v_fma_f64 v[136:137], v[146:147], -0.5, v[86:87]
	s_waitcnt vmcnt(13)
	v_add_f64 v[86:87], v[56:57], v[48:49]
	v_add_f64 v[100:101], v[100:101], v[132:133]
	;; [unrolled: 1-line block ×5, first 2 shown]
	s_waitcnt vmcnt(12)
	v_add_f64 v[140:141], v[52:53], v[56:57]
	v_add_f64 v[142:143], v[54:55], v[58:59]
	v_fma_f64 v[98:99], v[138:139], -0.5, v[98:99]
	v_add_f64 v[138:139], v[80:81], v[148:149]
	v_add_f64 v[80:81], v[76:77], -v[80:81]
	v_add_f64 v[76:77], v[58:59], v[50:51]
	v_fma_f64 v[74:75], v[126:127], -0.5, v[74:75]
	s_waitcnt vmcnt(9)
	v_add_f64 v[126:127], v[44:45], v[40:41]
	v_fma_f64 v[72:73], v[124:125], -0.5, v[72:73]
	v_add_f64 v[124:125], v[42:43], v[38:39]
	v_add_f64 v[60:61], v[60:61], -v[64:65]
	s_waitcnt vmcnt(6)
	v_add_f64 v[146:147], v[30:31], v[26:27]
	v_add_f64 v[148:149], v[62:63], -v[66:67]
	v_fma_f64 v[68:69], v[128:129], -0.5, v[68:69]
	v_fma_f64 v[70:71], v[130:131], -0.5, v[70:71]
	v_add_f64 v[128:129], v[64:65], v[134:135]
	v_add_f64 v[130:131], v[46:47], v[42:43]
	;; [unrolled: 1-line block ×5, first 2 shown]
	v_fma_f64 v[84:85], v[144:145], -0.5, v[84:85]
	v_add_f64 v[62:63], v[66:67], v[88:89]
	v_add_f64 v[66:67], v[24:25], v[32:33]
	v_fma_f64 v[48:49], v[140:141], -0.5, v[48:49]
	v_fma_f64 v[140:141], v[142:143], -0.5, v[50:51]
	s_waitcnt vmcnt(3)
	v_add_f64 v[142:143], v[18:19], v[14:15]
	v_add_f64 v[78:79], v[78:79], -v[82:83]
	v_add_f64 v[144:145], v[40:41], v[36:37]
	v_add_f64 v[58:59], v[58:59], -v[54:55]
	;; [unrolled: 2-line block ×3, first 2 shown]
	v_fma_f64 v[36:37], v[126:127], -0.5, v[36:37]
	v_add_f64 v[50:51], v[46:47], v[124:125]
	v_add_f64 v[124:125], v[40:41], -v[44:45]
	s_waitcnt vmcnt(0)
	v_add_f64 v[40:41], v[4:5], v[0:1]
	s_mov_b32 s7, 0xbfebb67a
	s_mov_b32 s6, s4
	v_add_f64 v[56:57], v[56:57], -v[52:53]
	v_add_f64 v[52:53], v[54:55], v[76:77]
	v_fma_f64 v[126:127], v[130:131], -0.5, v[38:39]
	v_add_f64 v[26:27], v[26:27], -v[30:31]
	v_add_f64 v[54:55], v[30:31], v[86:87]
	v_fma_f64 v[30:31], v[118:119], s[4:5], v[104:105]
	v_fma_f64 v[38:39], v[118:119], s[6:7], v[104:105]
	v_fma_f64 v[32:33], v[134:135], -0.5, v[32:33]
	v_fma_f64 v[130:131], v[146:147], -0.5, v[34:35]
	v_add_f64 v[34:35], v[28:29], v[66:67]
	v_add_f64 v[134:135], v[24:25], -v[28:29]
	v_add_f64 v[28:29], v[14:15], v[22:23]
	v_fma_f64 v[104:105], v[142:143], -0.5, v[22:23]
	v_fma_f64 v[22:23], v[114:115], s[4:5], v[96:97]
	v_add_f64 v[76:77], v[44:45], v[144:145]
	v_add_f64 v[24:25], v[12:13], v[20:21]
	v_fma_f64 v[20:21], v[88:89], -0.5, v[20:21]
	v_fma_f64 v[44:45], v[114:115], s[6:7], v[96:97]
	v_fma_f64 v[86:87], v[94:95], s[4:5], v[84:85]
	;; [unrolled: 1-line block ×10, first 2 shown]
	v_add_f64 v[14:15], v[14:15], -v[18:19]
	v_add_f64 v[46:47], v[0:1], v[8:9]
	v_fma_f64 v[8:9], v[40:41], -0.5, v[8:9]
	v_add_f64 v[40:41], v[6:7], v[2:3]
	v_add_f64 v[66:67], v[2:3], -v[6:7]
	v_mad_u32_u24 v142, v160, 24, 0
	v_mad_i32_i24 v147, v187, 24, 0
	s_load_dwordx2 s[8:9], s[14:15], 0x0
	v_mad_i32_i24 v167, v161, 24, 0
	v_mad_i32_i24 v168, v164, 24, 0
	ds_write2_b64 v142, v[108:109], v[30:31] offset1:1
	v_mad_i32_i24 v108, v188, 24, 0
	ds_write_b64 v142, v[38:39] offset:16
	ds_write2_b64 v147, v[100:101], v[22:23] offset1:1
	v_mad_i32_i24 v100, v162, 24, 0
	v_mad_i32_i24 v101, v163, 24, 0
	v_add_f64 v[2:3], v[2:3], v[10:11]
	v_fma_f64 v[36:37], v[42:43], s[6:7], v[36:37]
	v_fma_f64 v[42:43], v[26:27], s[4:5], v[32:33]
	ds_write_b64 v147, v[44:45] offset:16
	ds_write2_b64 v108, v[132:133], v[86:87] offset1:1
	ds_write_b64 v108, v[84:85] offset:16
	ds_write2_b64 v167, v[138:139], v[88:89] offset1:1
	;; [unrolled: 2-line block ×5, first 2 shown]
	v_fma_f64 v[58:59], v[116:117], s[6:7], v[106:107]
	v_fma_f64 v[26:27], v[26:27], s[6:7], v[32:33]
	;; [unrolled: 1-line block ×3, first 2 shown]
	v_add_f64 v[24:25], v[16:17], v[24:25]
	v_add_f64 v[118:119], v[12:13], -v[16:17]
	v_fma_f64 v[12:13], v[14:15], s[4:5], v[20:21]
	v_fma_f64 v[14:15], v[14:15], s[6:7], v[20:21]
	v_add_f64 v[16:17], v[4:5], v[46:47]
	v_fma_f64 v[143:144], v[40:41], -0.5, v[10:11]
	v_fma_f64 v[10:11], v[66:67], s[4:5], v[8:9]
	v_fma_f64 v[8:9], v[66:67], s[6:7], v[8:9]
	;; [unrolled: 1-line block ×3, first 2 shown]
	v_lshlrev_b32_e32 v175, 4, v161
	v_lshlrev_b32_e32 v176, 4, v164
	v_lshl_add_u32 v171, v160, 3, 0
	v_fma_f64 v[72:73], v[112:113], s[4:5], v[98:99]
	v_mad_i32_i24 v170, v169, 24, 0
	v_lshlrev_b32_e32 v177, 4, v169
	v_mad_i32_i24 v94, v165, 24, 0
	v_sub_nc_u32_e32 v191, v167, v175
	v_sub_nc_u32_e32 v189, v168, v176
	v_add_nc_u32_e32 v179, 0x2400, v171
	v_add_nc_u32_e32 v178, 0x3800, v171
	;; [unrolled: 1-line block ×5, first 2 shown]
	v_sub_nc_u32_e32 v190, v170, v177
	v_add_nc_u32_e32 v180, 0x3000, v171
	v_add_nc_u32_e32 v182, 0x4800, v171
	v_lshl_add_u32 v173, v188, 3, 0
	v_add_nc_u32_e32 v185, 0x2800, v171
	v_mad_i32_i24 v95, v166, 24, 0
	v_add_nc_u32_e32 v174, 0x2000, v171
	v_add_nc_u32_e32 v184, 0x3c00, v171
	v_lshl_add_u32 v172, v187, 3, 0
	v_add_nc_u32_e32 v186, 0x4c00, v171
	v_add_f64 v[82:83], v[82:83], v[150:151]
	v_add_nc_u32_e32 v138, 0x800, v171
	v_fma_f64 v[78:79], v[92:93], s[6:7], v[136:137]
	v_fma_f64 v[84:85], v[92:93], s[4:5], v[136:137]
	;; [unrolled: 1-line block ×3, first 2 shown]
	v_add_f64 v[114:115], v[18:19], v[28:29]
	v_add_f64 v[149:150], v[6:7], v[2:3]
	v_add_f64 v[145:146], v[0:1], -v[4:5]
	ds_write_b64 v168, v[36:37] offset:16
	ds_write2_b64 v94, v[34:35], v[42:43] offset1:1
	ds_write_b64 v94, v[26:27] offset:16
	ds_write2_b64 v95, v[24:25], v[12:13] offset1:1
	;; [unrolled: 2-line block ×3, first 2 shown]
	ds_write_b64 v170, v[8:9] offset:16
	s_waitcnt lgkmcnt(0)
	s_barrier
	buffer_gl0_inv
	ds_read_b64 v[88:89], v189
	ds_read_b64 v[76:77], v190
	ds_read2_b64 v[32:35], v174 offset0:56 offset1:146
	ds_read2_b64 v[16:19], v179 offset0:108 offset1:198
	;; [unrolled: 1-line block ×6, first 2 shown]
	ds_read_b64 v[86:87], v171
	ds_read_b64 v[66:67], v172
	ds_read2_b64 v[20:23], v138 offset0:104 offset1:194
	ds_read_b64 v[96:97], v191
	ds_read_b64 v[48:49], v173
	ds_read2_b64 v[44:47], v139 offset0:118 offset1:208
	ds_read2_b64 v[40:43], v183 offset0:132 offset1:222
	;; [unrolled: 1-line block ×5, first 2 shown]
	s_waitcnt lgkmcnt(0)
	s_barrier
	buffer_gl0_inv
	ds_write2_b64 v142, v[110:111], v[58:59] offset1:1
	ds_write_b64 v142, v[64:65] offset:16
	v_fma_f64 v[58:59], v[80:81], s[4:5], v[74:75]
	ds_write2_b64 v147, v[102:103], v[68:69] offset1:1
	v_fma_f64 v[64:65], v[60:61], s[6:7], v[70:71]
	v_fma_f64 v[68:69], v[56:57], s[6:7], v[140:141]
	;; [unrolled: 1-line block ×5, first 2 shown]
	ds_write_b64 v147, v[72:73] offset:16
	v_fma_f64 v[72:73], v[124:125], s[4:5], v[126:127]
	v_and_b32_e32 v141, 0xff, v160
	v_and_b32_e32 v142, 0xff, v187
	ds_write2_b64 v108, v[90:91], v[78:79] offset1:1
	ds_write_b64 v108, v[84:85] offset:16
	ds_write2_b64 v167, v[82:83], v[92:93] offset1:1
	v_mul_lo_u16 v92, 0xab, v141
	v_fma_f64 v[84:85], v[145:146], s[6:7], v[143:144]
	v_fma_f64 v[90:91], v[145:146], s[4:5], v[143:144]
	;; [unrolled: 1-line block ×4, first 2 shown]
	v_lshrrev_b16 v145, 9, v92
	v_fma_f64 v[78:79], v[134:135], s[4:5], v[130:131]
	v_fma_f64 v[80:81], v[118:119], s[6:7], v[104:105]
	ds_write_b64 v167, v[58:59] offset:16
	v_mul_lo_u16 v58, 0xab, v142
	v_mul_lo_u16 v59, v145, 3
	ds_write2_b64 v100, v[62:63], v[64:65] offset1:1
	ds_write_b64 v100, v[60:61] offset:16
	ds_write2_b64 v101, v[52:53], v[68:69] offset1:1
	v_lshrrev_b16 v147, 9, v58
	ds_write_b64 v101, v[56:57] offset:16
	ds_write2_b64 v168, v[50:51], v[70:71] offset1:1
	ds_write_b64 v168, v[72:73] offset:16
	v_sub_nc_u16 v148, v160, v59
	v_mov_b32_e32 v140, 9
	ds_write2_b64 v94, v[54:55], v[74:75] offset1:1
	ds_write_b64 v94, v[78:79] offset:16
	ds_write2_b64 v95, v[114:115], v[80:81] offset1:1
	v_mul_lo_u16 v50, v147, 3
	ds_write_b64 v95, v[82:83] offset:16
	ds_write2_b64 v170, v[149:150], v[84:85] offset1:1
	ds_write_b64 v170, v[90:91] offset:16
	s_waitcnt lgkmcnt(0)
	s_barrier
	buffer_gl0_inv
	v_sub_nc_u16 v146, v187, v50
	v_mul_u32_u24_sdwa v50, v148, v140 dst_sel:DWORD dst_unused:UNUSED_PAD src0_sel:BYTE_0 src1_sel:DWORD
	v_mov_b32_e32 v62, 0xaaab
	v_mov_b32_e32 v159, 0xf0
	s_mov_b32 s20, 0x134454ff
	v_mul_u32_u24_sdwa v51, v146, v140 dst_sel:DWORD dst_unused:UNUSED_PAD src0_sel:BYTE_0 src1_sel:DWORD
	v_lshlrev_b32_e32 v73, 4, v50
	v_mul_u32_u24_sdwa v62, v188, v62 dst_sel:DWORD dst_unused:UNUSED_PAD src0_sel:WORD_0 src1_sel:DWORD
	s_mov_b32 s21, 0x3fee6f0e
	s_mov_b32 s17, 0xbfee6f0e
	v_lshlrev_b32_e32 v72, 4, v51
	s_clause 0x5
	global_load_dwordx4 v[50:53], v73, s[12:13] offset:48
	global_load_dwordx4 v[54:57], v72, s[12:13] offset:48
	;; [unrolled: 1-line block ×6, first 2 shown]
	v_lshrrev_b32_e32 v143, 17, v62
	s_mov_b32 s16, s20
	s_mov_b32 s18, 0x4755a5e
	;; [unrolled: 1-line block ×4, first 2 shown]
	v_mul_lo_u16 v62, v143, 3
	s_mov_b32 s14, s18
	s_mov_b32 s0, 0x372fe950
	;; [unrolled: 1-line block ×4, first 2 shown]
	v_sub_nc_u16 v144, v188, v62
	s_mov_b32 s23, 0x3fe9e377
	v_mul_u32_u24_e32 v143, 0xf0, v143
	v_mul_u32_u24_sdwa v62, v144, v140 dst_sel:DWORD dst_unused:UNUSED_PAD src0_sel:WORD_0 src1_sel:DWORD
	v_lshlrev_b32_e32 v157, 4, v62
	s_clause 0x5
	global_load_dwordx4 v[98:101], v72, s[12:13]
	global_load_dwordx4 v[102:105], v157, s[12:13]
	global_load_dwordx4 v[106:109], v72, s[12:13] offset:16
	global_load_dwordx4 v[110:113], v157, s[12:13] offset:16
	;; [unrolled: 1-line block ×4, first 2 shown]
	ds_read2_b64 v[62:65], v174 offset0:56 offset1:146
	s_clause 0x2
	global_load_dwordx4 v[128:131], v73, s[12:13] offset:64
	global_load_dwordx4 v[196:199], v73, s[12:13] offset:96
	;; [unrolled: 1-line block ×3, first 2 shown]
	ds_read2_b64 v[132:135], v180 offset0:84 offset1:174
	s_clause 0x2
	global_load_dwordx4 v[153:156], v72, s[12:13] offset:64
	global_load_dwordx4 v[200:203], v72, s[12:13] offset:96
	;; [unrolled: 1-line block ×3, first 2 shown]
	s_waitcnt vmcnt(17) lgkmcnt(1)
	v_mul_f64 v[68:69], v[62:63], v[52:53]
	v_mul_f64 v[52:53], v[32:33], v[52:53]
	s_waitcnt vmcnt(16)
	v_mul_f64 v[70:71], v[64:65], v[56:57]
	v_mul_f64 v[56:57], v[34:35], v[56:57]
	v_fma_f64 v[68:69], v[32:33], v[50:51], -v[68:69]
	v_fma_f64 v[62:63], v[62:63], v[50:51], v[52:53]
	s_waitcnt vmcnt(15) lgkmcnt(0)
	v_mul_f64 v[50:51], v[132:133], v[60:61]
	v_fma_f64 v[52:53], v[34:35], v[54:55], -v[70:71]
	v_mul_f64 v[34:35], v[28:29], v[60:61]
	v_fma_f64 v[32:33], v[64:65], v[54:55], v[56:57]
	s_waitcnt vmcnt(14)
	v_mul_f64 v[56:57], v[30:31], v[80:81]
	v_mul_f64 v[54:55], v[134:135], v[80:81]
	v_fma_f64 v[70:71], v[28:29], v[58:59], -v[50:51]
	v_fma_f64 v[64:65], v[132:133], v[58:59], v[34:35]
	ds_read2_b64 v[58:61], v181 offset0:112 offset1:202
	v_fma_f64 v[28:29], v[134:135], v[78:79], v[56:57]
	global_load_dwordx4 v[132:135], v157, s[12:13] offset:80
	v_fma_f64 v[54:55], v[30:31], v[78:79], -v[54:55]
	s_waitcnt vmcnt(14)
	v_mul_f64 v[34:35], v[24:25], v[84:85]
	s_waitcnt lgkmcnt(0)
	v_mul_f64 v[30:31], v[58:59], v[84:85]
	v_fma_f64 v[58:59], v[58:59], v[82:83], v[34:35]
	s_waitcnt vmcnt(12)
	v_mul_f64 v[34:35], v[20:21], v[100:101]
	v_fma_f64 v[78:79], v[24:25], v[82:83], -v[30:31]
	v_mul_f64 v[24:25], v[60:61], v[92:93]
	ds_read2_b64 v[82:85], v183 offset0:132 offset1:222
	v_fma_f64 v[56:57], v[26:27], v[90:91], -v[24:25]
	v_mul_f64 v[24:25], v[26:27], v[92:93]
	s_waitcnt vmcnt(8) lgkmcnt(0)
	v_mul_f64 v[92:93], v[82:83], v[116:117]
	v_fma_f64 v[50:51], v[60:61], v[90:91], v[24:25]
	ds_read2_b64 v[24:27], v138 offset0:104 offset1:194
	v_fma_f64 v[94:95], v[40:41], v[114:115], -v[92:93]
	s_waitcnt lgkmcnt(0)
	v_mul_f64 v[30:31], v[24:25], v[100:101]
	v_mul_f64 v[60:61], v[26:27], v[104:105]
	v_fma_f64 v[24:25], v[24:25], v[98:99], v[34:35]
	v_fma_f64 v[90:91], v[20:21], v[98:99], -v[30:31]
	v_mul_f64 v[30:31], v[22:23], v[104:105]
	v_fma_f64 v[80:81], v[22:23], v[102:103], -v[60:61]
	ds_read2_b64 v[20:23], v139 offset0:118 offset1:208
	ds_read2_b64 v[98:101], v179 offset0:108 offset1:198
	v_fma_f64 v[30:31], v[26:27], v[102:103], v[30:31]
	v_mul_f64 v[26:27], v[44:45], v[108:109]
	s_waitcnt lgkmcnt(1)
	v_mul_f64 v[34:35], v[20:21], v[108:109]
	v_mul_f64 v[74:75], v[22:23], v[112:113]
	v_fma_f64 v[20:21], v[20:21], v[106:107], v[26:27]
	v_mul_f64 v[26:27], v[46:47], v[112:113]
	v_fma_f64 v[60:61], v[44:45], v[106:107], -v[34:35]
	v_fma_f64 v[34:35], v[46:47], v[110:111], -v[74:75]
	v_mul_f64 v[46:47], v[40:41], v[116:117]
	s_waitcnt vmcnt(7)
	v_mul_f64 v[74:75], v[42:43], v[126:127]
	global_load_dwordx4 v[116:119], v73, s[12:13] offset:128
	ds_read2_b64 v[104:107], v185 offset0:160 offset1:250
	v_fma_f64 v[44:45], v[22:23], v[110:111], v[26:27]
	global_load_dwordx4 v[108:111], v157, s[12:13] offset:96
	v_mul_f64 v[22:23], v[84:85], v[126:127]
	v_fma_f64 v[26:27], v[82:83], v[114:115], v[46:47]
	v_fma_f64 v[40:41], v[84:85], v[124:125], v[74:75]
	s_waitcnt vmcnt(6) lgkmcnt(1)
	v_mul_f64 v[74:75], v[98:99], v[151:152]
	v_mul_f64 v[84:85], v[16:17], v[151:152]
	s_waitcnt vmcnt(5) lgkmcnt(0)
	v_mul_f64 v[92:93], v[104:105], v[155:156]
	ds_read2_b64 v[112:115], v178 offset0:8 offset1:98
	v_fma_f64 v[82:83], v[42:43], v[124:125], -v[22:23]
	global_load_dwordx4 v[124:127], v157, s[12:13] offset:112
	v_mul_f64 v[42:43], v[18:19], v[130:131]
	v_mul_f64 v[22:23], v[100:101], v[130:131]
	v_fma_f64 v[46:47], v[100:101], v[128:129], v[42:43]
	v_fma_f64 v[42:43], v[16:17], v[149:150], -v[74:75]
	s_waitcnt vmcnt(4)
	v_mul_f64 v[74:75], v[106:107], v[194:195]
	v_fma_f64 v[102:103], v[18:19], v[128:129], -v[22:23]
	v_mul_f64 v[18:19], v[36:37], v[155:156]
	v_fma_f64 v[16:17], v[98:99], v[149:150], v[84:85]
	v_mul_f64 v[100:101], v[38:39], v[194:195]
	v_fma_f64 v[98:99], v[36:37], v[153:154], -v[92:93]
	s_waitcnt lgkmcnt(0)
	v_mul_f64 v[36:37], v[114:115], v[198:199]
	s_clause 0x1
	global_load_dwordx4 v[128:131], v73, s[12:13] offset:16
	global_load_dwordx4 v[149:152], v73, s[12:13] offset:32
	v_fma_f64 v[84:85], v[38:39], v[192:193], -v[74:75]
	v_mul_f64 v[38:39], v[14:15], v[198:199]
	v_fma_f64 v[22:23], v[104:105], v[153:154], v[18:19]
	v_fma_f64 v[18:19], v[106:107], v[192:193], v[100:101]
	v_fma_f64 v[106:107], v[14:15], v[196:197], -v[36:37]
	v_fma_f64 v[36:37], v[114:115], v[196:197], v[38:39]
	s_waitcnt vmcnt(5)
	v_mul_f64 v[74:75], v[112:113], v[134:135]
	v_mul_f64 v[92:93], v[12:13], v[134:135]
	ds_read2_b64 v[134:137], v184 offset0:60 offset1:150
	s_clause 0x1
	global_load_dwordx4 v[153:156], v73, s[12:13]
	global_load_dwordx4 v[192:195], v72, s[12:13] offset:128
	v_fma_f64 v[12:13], v[12:13], v[132:133], -v[74:75]
	s_waitcnt lgkmcnt(0)
	v_mul_f64 v[38:39], v[134:135], v[202:203]
	v_mul_f64 v[74:75], v[8:9], v[202:203]
	v_fma_f64 v[14:15], v[112:113], v[132:133], v[92:93]
	v_fma_f64 v[112:113], v[8:9], v[200:201], -v[38:39]
	v_fma_f64 v[38:39], v[134:135], v[200:201], v[74:75]
	global_load_dwordx4 v[132:135], v157, s[12:13] offset:128
	v_add_f64 v[157:158], v[102:103], -v[106:107]
	s_waitcnt vmcnt(7)
	v_mul_f64 v[100:101], v[2:3], v[118:119]
	s_waitcnt vmcnt(6)
	v_mul_f64 v[8:9], v[136:137], v[110:111]
	v_fma_f64 v[92:93], v[10:11], v[108:109], -v[8:9]
	v_mul_f64 v[8:9], v[10:11], v[110:111]
	v_fma_f64 v[74:75], v[136:137], v[108:109], v[8:9]
	ds_read2_b64 v[8:11], v182 offset0:36 offset1:126
	s_waitcnt lgkmcnt(0)
	v_mul_f64 v[72:73], v[10:11], v[118:119]
	s_waitcnt vmcnt(5)
	v_mul_f64 v[104:105], v[8:9], v[126:127]
	v_fma_f64 v[114:115], v[2:3], v[116:117], -v[72:73]
	v_fma_f64 v[2:3], v[10:11], v[116:117], v[100:101]
	ds_read_b64 v[100:101], v189
	v_mul_f64 v[10:11], v[0:1], v[126:127]
	v_fma_f64 v[0:1], v[0:1], v[124:125], -v[104:105]
	s_waitcnt vmcnt(4)
	v_mul_f64 v[116:117], v[88:89], v[130:131]
	ds_read_b64 v[118:119], v190
	ds_read_b64 v[136:137], v191
	ds_read2_b64 v[108:111], v186 offset0:88 offset1:178
	s_waitcnt lgkmcnt(3)
	v_mul_f64 v[104:105], v[100:101], v[130:131]
	v_fma_f64 v[72:73], v[8:9], v[124:125], v[10:11]
	v_fma_f64 v[8:9], v[100:101], v[128:129], v[116:117]
	s_waitcnt vmcnt(3)
	v_mul_f64 v[100:101], v[76:77], v[151:152]
	s_waitcnt vmcnt(1) lgkmcnt(0)
	v_mul_f64 v[124:125], v[108:109], v[194:195]
	v_fma_f64 v[10:11], v[88:89], v[128:129], -v[104:105]
	v_mul_f64 v[88:89], v[118:119], v[151:152]
	v_mul_f64 v[104:105], v[136:137], v[155:156]
	v_add_f64 v[151:152], v[46:47], v[36:37]
	v_add_f64 v[128:129], v[68:69], v[70:71]
	v_fma_f64 v[130:131], v[76:77], v[149:150], -v[88:89]
	v_mul_f64 v[76:77], v[4:5], v[194:195]
	v_fma_f64 v[88:89], v[118:119], v[149:150], v[100:101]
	v_fma_f64 v[116:117], v[96:97], v[153:154], -v[104:105]
	v_fma_f64 v[118:119], v[4:5], v[192:193], -v[124:125]
	v_add_f64 v[124:125], v[78:79], -v[70:71]
	v_add_f64 v[149:150], v[102:103], v[106:107]
	v_fma_f64 v[128:129], v[128:129], -0.5, v[86:87]
	v_add_f64 v[195:196], v[46:47], -v[36:37]
	s_waitcnt vmcnt(0)
	v_mul_f64 v[100:101], v[110:111], v[134:135]
	v_mul_f64 v[126:127], v[6:7], v[134:135]
	;; [unrolled: 1-line block ×3, first 2 shown]
	v_add_f64 v[155:156], v[62:63], -v[64:65]
	v_add_f64 v[104:105], v[130:131], -v[102:103]
	v_fma_f64 v[4:5], v[108:109], v[192:193], v[76:77]
	v_mov_b32_e32 v192, 3
	v_add_f64 v[193:194], v[88:89], -v[2:3]
	v_add_f64 v[108:109], v[8:9], -v[58:59]
	v_lshlrev_b32_sdwa v146, v192, v146 dst_sel:DWORD dst_unused:UNUSED_PAD src0_sel:DWORD src1_sel:BYTE_0
	v_lshlrev_b32_sdwa v144, v192, v144 dst_sel:DWORD dst_unused:UNUSED_PAD src0_sel:DWORD src1_sel:WORD_0
	v_fma_f64 v[96:97], v[6:7], v[132:133], -v[100:101]
	v_fma_f64 v[76:77], v[110:111], v[132:133], v[126:127]
	v_add_f64 v[100:101], v[10:11], -v[68:69]
	v_add_f64 v[132:133], v[114:115], -v[106:107]
	v_add_f64 v[126:127], v[116:117], v[130:131]
	v_fma_f64 v[6:7], v[136:137], v[153:154], v[134:135]
	v_add_f64 v[134:135], v[88:89], -v[46:47]
	v_add_f64 v[136:137], v[2:3], -v[36:37]
	v_add_f64 v[110:111], v[86:87], v[10:11]
	v_add3_u32 v143, 0, v143, v144
	v_add_f64 v[153:154], v[100:101], v[124:125]
	v_add_f64 v[132:133], v[104:105], v[132:133]
	;; [unrolled: 1-line block ×3, first 2 shown]
	v_lshlrev_b32_sdwa v125, v192, v148 dst_sel:DWORD dst_unused:UNUSED_PAD src0_sel:DWORD src1_sel:BYTE_0
	v_mul_u32_u24_sdwa v124, v145, v159 dst_sel:DWORD dst_unused:UNUSED_PAD src0_sel:WORD_0 src1_sel:DWORD
	v_add_f64 v[134:135], v[134:135], v[136:137]
	v_fma_f64 v[136:137], v[149:150], -0.5, v[116:117]
	v_fma_f64 v[148:149], v[151:152], -0.5, v[6:7]
	v_add_f64 v[150:151], v[130:131], -v[114:115]
	v_add3_u32 v145, 0, v124, v125
	v_add_f64 v[100:101], v[110:111], v[68:69]
	v_fma_f64 v[110:111], v[108:109], s[20:21], v[128:129]
	v_add_f64 v[102:103], v[102:103], -v[130:131]
	v_add_f64 v[130:131], v[130:131], v[114:115]
	v_mul_u32_u24_sdwa v152, v147, v159 dst_sel:DWORD dst_unused:UNUSED_PAD src0_sel:WORD_0 src1_sel:DWORD
	v_add3_u32 v146, 0, v152, v146
	v_add_f64 v[124:125], v[104:105], v[106:107]
	v_add_f64 v[106:107], v[106:107], -v[114:115]
	v_fma_f64 v[126:127], v[193:194], s[20:21], v[136:137]
	v_fma_f64 v[104:105], v[150:151], s[16:17], v[148:149]
	v_add_f64 v[100:101], v[100:101], v[70:71]
	v_fma_f64 v[110:111], v[155:156], s[18:19], v[110:111]
	v_fma_f64 v[116:117], v[130:131], -0.5, v[116:117]
	v_add_f64 v[130:131], v[36:37], -v[2:3]
	v_add_f64 v[199:200], v[124:125], v[114:115]
	v_add_f64 v[114:115], v[10:11], v[78:79]
	;; [unrolled: 1-line block ×3, first 2 shown]
	v_add_f64 v[106:107], v[46:47], -v[88:89]
	v_fma_f64 v[126:127], v[195:196], s[18:19], v[126:127]
	v_fma_f64 v[104:105], v[157:158], s[14:15], v[104:105]
	v_add_f64 v[197:198], v[100:101], v[78:79]
	v_fma_f64 v[201:202], v[153:154], s[0:1], v[110:111]
	v_fma_f64 v[86:87], v[114:115], -0.5, v[86:87]
	v_add_f64 v[114:115], v[68:69], -v[10:11]
	v_add_f64 v[130:131], v[106:107], v[130:131]
	v_fma_f64 v[124:125], v[132:133], s[0:1], v[126:127]
	v_add_f64 v[10:11], v[10:11], -v[78:79]
	v_fma_f64 v[104:105], v[134:135], s[0:1], v[104:105]
	v_add_f64 v[68:69], v[68:69], -v[70:71]
	v_add_f64 v[205:206], v[197:198], v[199:200]
	v_fma_f64 v[106:107], v[155:156], s[16:17], v[86:87]
	v_fma_f64 v[86:87], v[155:156], s[20:21], v[86:87]
	v_mul_f64 v[100:101], v[104:105], s[18:19]
	v_fma_f64 v[106:107], v[108:109], s[18:19], v[106:107]
	v_fma_f64 v[86:87], v[108:109], s[14:15], v[86:87]
	;; [unrolled: 1-line block ×5, first 2 shown]
	ds_read_b64 v[100:101], v173
	ds_read_b64 v[126:127], v171
	;; [unrolled: 1-line block ×3, first 2 shown]
	s_waitcnt lgkmcnt(0)
	s_barrier
	buffer_gl0_inv
	v_fma_f64 v[108:109], v[155:156], s[14:15], v[108:109]
	v_fma_f64 v[128:129], v[157:158], s[18:19], v[128:129]
	v_add_f64 v[155:156], v[20:21], -v[50:51]
	v_add_f64 v[207:208], v[201:202], v[203:204]
	ds_write2_b64 v145, v[205:206], v[207:208] offset1:3
	v_add_f64 v[205:206], v[70:71], -v[78:79]
	v_add_f64 v[78:79], v[126:127], v[8:9]
	v_add_f64 v[70:71], v[58:59], -v[64:65]
	v_add_f64 v[114:115], v[114:115], v[205:206]
	v_add_f64 v[78:79], v[78:79], v[62:63]
	v_fma_f64 v[207:208], v[114:115], s[0:1], v[86:87]
	v_fma_f64 v[86:87], v[195:196], s[16:17], v[116:117]
	v_fma_f64 v[205:206], v[114:115], s[0:1], v[106:107]
	v_fma_f64 v[106:107], v[195:196], s[20:21], v[116:117]
	v_add_f64 v[78:79], v[78:79], v[64:65]
	v_fma_f64 v[86:87], v[193:194], s[18:19], v[86:87]
	v_fma_f64 v[106:107], v[193:194], s[14:15], v[106:107]
	;; [unrolled: 1-line block ×3, first 2 shown]
	v_add_f64 v[86:87], v[88:89], v[2:3]
	v_fma_f64 v[102:103], v[102:103], s[0:1], v[106:107]
	v_fma_f64 v[86:87], v[86:87], -0.5, v[6:7]
	v_add_f64 v[6:7], v[6:7], v[88:89]
	v_fma_f64 v[106:107], v[157:158], s[20:21], v[86:87]
	v_fma_f64 v[86:87], v[157:158], s[16:17], v[86:87]
	v_add_f64 v[157:158], v[32:33], -v[28:29]
	v_add_f64 v[6:7], v[6:7], v[46:47]
	v_add_f64 v[46:47], v[62:63], v[64:65]
	v_fma_f64 v[106:107], v[150:151], s[14:15], v[106:107]
	v_fma_f64 v[86:87], v[150:151], s[18:19], v[86:87]
	v_add_f64 v[6:7], v[6:7], v[36:37]
	v_fma_f64 v[46:47], v[46:47], -0.5, v[126:127]
	v_add_f64 v[36:37], v[8:9], -v[62:63]
	v_fma_f64 v[106:107], v[130:131], s[0:1], v[106:107]
	v_fma_f64 v[114:115], v[130:131], s[0:1], v[86:87]
	v_add_f64 v[6:7], v[6:7], v[2:3]
	v_add_f64 v[36:37], v[36:37], v[70:71]
	v_mul_f64 v[70:71], v[124:125], s[14:15]
	v_mul_f64 v[86:87], v[106:107], s[20:21]
	v_fma_f64 v[70:71], v[104:105], s[22:23], v[70:71]
	v_add_f64 v[104:105], v[78:79], v[58:59]
	v_fma_f64 v[130:131], v[116:117], s[0:1], v[86:87]
	v_mul_f64 v[86:87], v[102:103], s[0:1]
	v_fma_f64 v[209:210], v[114:115], s[20:21], -v[86:87]
	v_add_f64 v[86:87], v[205:206], v[130:131]
	v_add_f64 v[130:131], v[205:206], -v[130:131]
	v_add_f64 v[211:212], v[207:208], v[209:210]
	ds_write2_b64 v145, v[86:87], v[211:212] offset0:6 offset1:9
	v_fma_f64 v[86:87], v[193:194], s[16:17], v[136:137]
	v_add_f64 v[136:137], v[207:208], -v[209:210]
	v_fma_f64 v[86:87], v[195:196], s[14:15], v[86:87]
	v_add_f64 v[195:196], v[94:95], -v[118:119]
	v_fma_f64 v[86:87], v[132:133], s[0:1], v[86:87]
	v_fma_f64 v[132:133], v[153:154], s[0:1], v[108:109]
	;; [unrolled: 1-line block ×3, first 2 shown]
	v_add_f64 v[128:129], v[197:198], -v[199:200]
	v_add_f64 v[134:135], v[201:202], -v[203:204]
	;; [unrolled: 1-line block ×5, first 2 shown]
	v_mul_f64 v[148:149], v[86:87], s[22:23]
	ds_write2_b64 v145, v[134:135], v[130:131] offset0:18 offset1:21
	v_add_f64 v[130:131], v[94:95], -v[98:99]
	v_add_f64 v[134:135], v[118:119], -v[112:113]
	v_fma_f64 v[148:149], v[108:109], s[18:19], -v[148:149]
	v_mul_f64 v[108:109], v[108:109], s[22:23]
	v_add_f64 v[134:135], v[130:131], v[134:135]
	v_add_f64 v[130:131], v[90:91], v[94:95]
	;; [unrolled: 1-line block ×3, first 2 shown]
	v_add_f64 v[132:133], v[132:133], -v[148:149]
	v_add_f64 v[148:149], v[56:57], -v[54:55]
	ds_write2_b64 v145, v[150:151], v[128:129] offset0:12 offset1:15
	v_add_f64 v[128:129], v[60:61], -v[52:53]
	v_add_f64 v[150:151], v[66:67], v[60:61]
	ds_write2_b64 v145, v[136:137], v[132:133] offset0:24 offset1:27
	v_add_f64 v[132:133], v[26:27], -v[22:23]
	v_add_f64 v[136:137], v[4:5], -v[38:39]
	v_add_f64 v[147:148], v[128:129], v[148:149]
	v_add_f64 v[128:129], v[52:53], v[54:55]
	;; [unrolled: 1-line block ×5, first 2 shown]
	v_fma_f64 v[151:152], v[128:129], -0.5, v[66:67]
	v_add_f64 v[128:129], v[130:131], v[98:99]
	v_add_f64 v[130:131], v[22:23], v[38:39]
	v_add_f64 v[98:99], v[98:99], -v[94:95]
	v_fma_f64 v[136:137], v[136:137], -0.5, v[90:91]
	v_add_f64 v[94:95], v[94:95], v[118:119]
	v_fma_f64 v[153:154], v[130:131], -0.5, v[24:25]
	v_add_f64 v[130:131], v[149:150], v[54:55]
	v_add_f64 v[149:150], v[128:129], v[112:113]
	v_fma_f64 v[128:129], v[155:156], s[20:21], v[151:152]
	v_fma_f64 v[203:204], v[199:200], s[20:21], v[136:137]
	v_add_f64 v[112:113], v[112:113], -v[118:119]
	v_fma_f64 v[90:91], v[94:95], -0.5, v[90:91]
	v_add_f64 v[205:206], v[130:131], v[56:57]
	v_add_f64 v[149:150], v[149:150], v[118:119]
	v_fma_f64 v[193:194], v[157:158], s[18:19], v[128:129]
	v_fma_f64 v[128:129], v[195:196], s[16:17], v[153:154]
	v_fma_f64 v[203:204], v[201:202], s[18:19], v[203:204]
	v_add_f64 v[118:119], v[60:61], v[56:57]
	v_add_f64 v[98:99], v[98:99], v[112:113]
	;; [unrolled: 1-line block ×3, first 2 shown]
	v_fma_f64 v[193:194], v[147:148], s[0:1], v[193:194]
	v_fma_f64 v[128:129], v[197:198], s[14:15], v[128:129]
	v_fma_f64 v[130:131], v[134:135], s[0:1], v[203:204]
	v_fma_f64 v[66:67], v[118:119], -0.5, v[66:67]
	v_add_f64 v[118:119], v[52:53], -v[60:61]
	v_add_f64 v[52:53], v[52:53], -v[54:55]
	v_fma_f64 v[128:129], v[132:133], s[0:1], v[128:129]
	v_fma_f64 v[94:95], v[157:158], s[16:17], v[66:67]
	;; [unrolled: 1-line block ×3, first 2 shown]
	v_mul_f64 v[203:204], v[128:129], s[18:19]
	v_fma_f64 v[94:95], v[155:156], s[18:19], v[94:95]
	v_fma_f64 v[66:67], v[155:156], s[14:15], v[66:67]
	;; [unrolled: 1-line block ×3, first 2 shown]
	v_add_f64 v[209:210], v[193:194], v[203:204]
	ds_write2_b64 v146, v[207:208], v[209:210] offset1:3
	v_add_f64 v[207:208], v[54:55], -v[56:57]
	v_add_f64 v[56:57], v[60:61], -v[56:57]
	v_add_f64 v[60:61], v[110:111], v[20:21]
	v_add_f64 v[118:119], v[118:119], v[207:208]
	;; [unrolled: 1-line block ×3, first 2 shown]
	v_fma_f64 v[209:210], v[118:119], s[0:1], v[66:67]
	v_fma_f64 v[66:67], v[201:202], s[16:17], v[90:91]
	;; [unrolled: 1-line block ×4, first 2 shown]
	v_add_f64 v[60:61], v[60:61], v[28:29]
	v_fma_f64 v[66:67], v[199:200], s[18:19], v[66:67]
	v_fma_f64 v[90:91], v[199:200], s[14:15], v[90:91]
	;; [unrolled: 1-line block ×4, first 2 shown]
	v_add_f64 v[90:91], v[22:23], -v[26:27]
	v_add_f64 v[98:99], v[38:39], -v[4:5]
	v_add_f64 v[90:91], v[90:91], v[98:99]
	v_add_f64 v[98:99], v[26:27], v[4:5]
	v_fma_f64 v[98:99], v[98:99], -0.5, v[24:25]
	v_fma_f64 v[112:113], v[197:198], s[20:21], v[98:99]
	v_fma_f64 v[98:99], v[197:198], s[16:17], v[98:99]
	;; [unrolled: 1-line block ×6, first 2 shown]
	v_mul_f64 v[112:113], v[66:67], s[0:1]
	v_mul_f64 v[90:91], v[98:99], s[20:21]
	v_fma_f64 v[211:212], v[118:119], s[20:21], -v[112:113]
	v_mul_f64 v[118:119], v[118:119], s[0:1]
	v_fma_f64 v[90:91], v[94:95], s[0:1], v[90:91]
	v_mul_f64 v[94:95], v[94:95], s[16:17]
	v_add_f64 v[213:214], v[209:210], v[211:212]
	v_fma_f64 v[66:67], v[66:67], s[16:17], -v[118:119]
	v_add_f64 v[112:113], v[207:208], v[90:91]
	v_add_f64 v[90:91], v[207:208], -v[90:91]
	v_add_f64 v[207:208], v[18:19], -v[74:75]
	v_fma_f64 v[94:95], v[98:99], s[0:1], v[94:95]
	ds_write2_b64 v146, v[112:113], v[213:214] offset0:6 offset1:9
	v_fma_f64 v[112:113], v[199:200], s[16:17], v[136:137]
	v_fma_f64 v[136:137], v[155:156], s[16:17], v[151:152]
	;; [unrolled: 1-line block ×3, first 2 shown]
	v_add_f64 v[199:200], v[82:83], -v[96:97]
	v_fma_f64 v[112:113], v[201:202], s[14:15], v[112:113]
	v_fma_f64 v[136:137], v[157:158], s[14:15], v[136:137]
	;; [unrolled: 1-line block ×3, first 2 shown]
	v_add_f64 v[201:202], v[84:85], -v[92:93]
	v_add_f64 v[157:158], v[16:17], -v[14:15]
	v_fma_f64 v[112:113], v[134:135], s[0:1], v[112:113]
	v_fma_f64 v[134:135], v[147:148], s[0:1], v[136:137]
	;; [unrolled: 1-line block ×3, first 2 shown]
	v_add_f64 v[136:137], v[205:206], -v[149:150]
	v_add_f64 v[151:152], v[80:81], v[82:83]
	v_mul_f64 v[147:148], v[112:113], s[22:23]
	v_fma_f64 v[147:148], v[132:133], s[18:19], -v[147:148]
	v_add_f64 v[149:150], v[134:135], v[147:148]
	v_add_f64 v[134:135], v[134:135], -v[147:148]
	v_add_f64 v[147:148], v[96:97], -v[92:93]
	ds_write2_b64 v146, v[149:150], v[136:137] offset0:12 offset1:15
	v_add_f64 v[149:150], v[209:210], -v[211:212]
	v_add_f64 v[136:137], v[193:194], -v[203:204]
	;; [unrolled: 1-line block ×3, first 2 shown]
	ds_write2_b64 v146, v[149:150], v[134:135] offset0:24 offset1:27
	v_add_f64 v[134:135], v[82:83], -v[84:85]
	ds_write2_b64 v146, v[136:137], v[90:91] offset0:18 offset1:21
	v_add_f64 v[90:91], v[34:35], -v[42:43]
	v_add_f64 v[136:137], v[0:1], -v[12:13]
	;; [unrolled: 1-line block ×3, first 2 shown]
	v_add_f64 v[147:148], v[134:135], v[147:148]
	v_add_f64 v[134:135], v[48:49], v[34:35]
	;; [unrolled: 1-line block ×3, first 2 shown]
	v_add_f64 v[136:137], v[40:41], -v[18:19]
	v_add_f64 v[134:135], v[134:135], v[42:43]
	v_add_f64 v[149:150], v[136:137], v[149:150]
	;; [unrolled: 1-line block ×5, first 2 shown]
	v_add_f64 v[151:152], v[44:45], -v[72:73]
	v_fma_f64 v[155:156], v[136:137], -0.5, v[48:49]
	v_add_f64 v[153:154], v[153:154], v[0:1]
	v_add_f64 v[193:194], v[134:135], v[92:93]
	;; [unrolled: 1-line block ×3, first 2 shown]
	v_fma_f64 v[136:137], v[151:152], s[20:21], v[155:156]
	v_add_f64 v[193:194], v[193:194], v[96:97]
	v_fma_f64 v[195:196], v[134:135], -0.5, v[80:81]
	v_add_f64 v[134:135], v[18:19], v[74:75]
	v_fma_f64 v[136:137], v[157:158], s[18:19], v[136:137]
	v_add_f64 v[211:212], v[153:154], v[193:194]
	v_fma_f64 v[205:206], v[203:204], s[20:21], v[195:196]
	v_fma_f64 v[197:198], v[134:135], -0.5, v[30:31]
	v_fma_f64 v[209:210], v[90:91], s[0:1], v[136:137]
	v_fma_f64 v[195:196], v[203:204], s[16:17], v[195:196]
	;; [unrolled: 1-line block ×9, first 2 shown]
	v_mul_f64 v[205:206], v[134:135], s[18:19]
	v_fma_f64 v[205:206], v[136:137], s[22:23], v[205:206]
	v_mul_f64 v[136:137], v[136:137], s[14:15]
	v_add_f64 v[213:214], v[209:210], v[205:206]
	v_add_f64 v[88:89], v[209:210], -v[205:206]
	ds_write2_b64 v143, v[211:212], v[213:214] offset1:3
	v_add_f64 v[211:212], v[34:35], v[0:1]
	v_add_f64 v[213:214], v[12:13], -v[0:1]
	v_add_f64 v[12:13], v[42:43], -v[12:13]
	v_fma_f64 v[48:49], v[211:212], -0.5, v[48:49]
	v_add_f64 v[211:212], v[42:43], -v[34:35]
	v_add_f64 v[211:212], v[211:212], v[213:214]
	v_add_f64 v[213:214], v[82:83], v[96:97]
	v_add_f64 v[82:83], v[84:85], -v[82:83]
	v_add_f64 v[84:85], v[92:93], -v[96:97]
	v_add_f64 v[96:97], v[74:75], -v[76:77]
	v_fma_f64 v[92:93], v[157:158], s[16:17], v[48:49]
	v_fma_f64 v[48:49], v[157:158], s[20:21], v[48:49]
	v_fma_f64 v[80:81], v[213:214], -0.5, v[80:81]
	v_add_f64 v[82:83], v[82:83], v[84:85]
	v_fma_f64 v[92:93], v[151:152], s[18:19], v[92:93]
	v_fma_f64 v[48:49], v[151:152], s[14:15], v[48:49]
	;; [unrolled: 1-line block ×14, first 2 shown]
	v_add_f64 v[151:152], v[153:154], -v[193:194]
	v_mul_f64 v[153:154], v[147:148], s[22:23]
	v_fma_f64 v[84:85], v[82:83], s[0:1], v[84:85]
	v_fma_f64 v[80:81], v[82:83], s[0:1], v[80:81]
	v_add_f64 v[82:83], v[18:19], -v[40:41]
	v_fma_f64 v[153:154], v[149:150], s[18:19], -v[153:154]
	v_mul_f64 v[213:214], v[80:81], s[0:1]
	v_add_f64 v[82:83], v[82:83], v[96:97]
	v_add_f64 v[96:97], v[40:41], v[76:77]
	;; [unrolled: 1-line block ×4, first 2 shown]
	v_add_f64 v[90:91], v[90:91], -v[153:154]
	v_add_f64 v[153:154], v[32:33], -v[20:21]
	v_fma_f64 v[96:97], v[96:97], -0.5, v[30:31]
	v_add_f64 v[18:19], v[40:41], v[18:19]
	ds_write2_b64 v143, v[155:156], v[151:152] offset0:12 offset1:15
	v_add_f64 v[155:156], v[28:29], -v[50:51]
	v_fma_f64 v[211:212], v[201:202], s[20:21], v[96:97]
	v_fma_f64 v[96:97], v[201:202], s[16:17], v[96:97]
	v_add_f64 v[74:75], v[18:19], v[74:75]
	v_fma_f64 v[211:212], v[199:200], s[14:15], v[211:212]
	v_fma_f64 v[96:97], v[199:200], s[18:19], v[96:97]
	v_add_f64 v[74:75], v[74:75], v[76:77]
	v_fma_f64 v[211:212], v[82:83], s[0:1], v[211:212]
	v_fma_f64 v[96:97], v[82:83], s[0:1], v[96:97]
	v_mul_f64 v[82:83], v[211:212], s[20:21]
	v_fma_f64 v[213:214], v[96:97], s[20:21], -v[213:214]
	v_mul_f64 v[96:97], v[96:97], s[0:1]
	v_fma_f64 v[82:83], v[84:85], s[0:1], v[82:83]
	v_mul_f64 v[84:85], v[84:85], s[16:17]
	v_fma_f64 v[80:81], v[80:81], s[16:17], -v[96:97]
	v_add_f64 v[217:218], v[48:49], v[213:214]
	v_add_f64 v[48:49], v[48:49], -v[213:214]
	v_add_f64 v[215:216], v[92:93], v[82:83]
	v_add_f64 v[82:83], v[92:93], -v[82:83]
	;; [unrolled: 2-line block ×3, first 2 shown]
	v_add_f64 v[62:63], v[64:65], -v[58:59]
	v_fma_f64 v[84:85], v[211:212], s[0:1], v[84:85]
	ds_write2_b64 v143, v[48:49], v[90:91] offset0:24 offset1:27
	ds_write2_b64 v143, v[215:216], v[217:218] offset0:6 offset1:9
	;; [unrolled: 1-line block ×3, first 2 shown]
	v_fma_f64 v[92:93], v[92:93], -0.5, v[126:127]
	v_fma_f64 v[126:127], v[10:11], s[16:17], v[46:47]
	v_add_f64 v[82:83], v[20:21], v[50:51]
	v_add_f64 v[2:3], v[8:9], v[62:63]
	s_waitcnt lgkmcnt(0)
	s_barrier
	buffer_gl0_inv
	v_fma_f64 v[64:65], v[68:69], s[20:21], v[92:93]
	v_fma_f64 v[92:93], v[68:69], s[16:17], v[92:93]
	;; [unrolled: 1-line block ×3, first 2 shown]
	v_add_f64 v[126:127], v[32:33], v[28:29]
	v_fma_f64 v[54:55], v[82:83], -0.5, v[110:111]
	ds_read_b64 v[88:89], v189
	ds_read_b64 v[82:83], v190
	;; [unrolled: 1-line block ×6, first 2 shown]
	v_fma_f64 v[8:9], v[10:11], s[14:15], v[64:65]
	v_fma_f64 v[62:63], v[10:11], s[18:19], v[92:93]
	v_mul_f64 v[64:65], v[116:117], s[16:17]
	v_fma_f64 v[92:93], v[126:127], -0.5, v[110:111]
	v_fma_f64 v[10:11], v[10:11], s[20:21], v[46:47]
	v_mul_f64 v[110:111], v[114:115], s[0:1]
	v_add_f64 v[114:115], v[20:21], -v[32:33]
	v_add_f64 v[116:117], v[50:51], -v[28:29]
	v_add_f64 v[126:127], v[16:17], v[14:15]
	v_add_f64 v[46:47], v[24:25], v[26:27]
	v_fma_f64 v[157:158], v[52:53], s[20:21], v[54:55]
	v_fma_f64 v[54:55], v[52:53], s[16:17], v[54:55]
	;; [unrolled: 1-line block ×3, first 2 shown]
	v_add_f64 v[50:51], v[60:61], v[50:51]
	ds_read2_b64 v[24:27], v174 offset0:56 offset1:146
	ds_read2_b64 v[28:31], v181 offset0:112 offset1:202
	v_fma_f64 v[151:152], v[2:3], s[0:1], v[8:9]
	v_fma_f64 v[62:63], v[2:3], s[0:1], v[62:63]
	v_add_f64 v[2:3], v[44:45], v[72:73]
	v_fma_f64 v[64:65], v[106:107], s[0:1], v[64:65]
	v_fma_f64 v[106:107], v[56:57], s[16:17], v[92:93]
	;; [unrolled: 1-line block ×4, first 2 shown]
	v_fma_f64 v[102:103], v[102:103], s[16:17], -v[110:111]
	v_add_f64 v[110:111], v[114:115], v[116:117]
	v_add_f64 v[114:115], v[100:101], v[44:45]
	v_add_f64 v[116:117], v[34:35], -v[0:1]
	v_fma_f64 v[126:127], v[126:127], -0.5, v[100:101]
	v_add_f64 v[46:47], v[46:47], v[22:23]
	v_add_f64 v[98:99], v[124:125], v[70:71]
	v_add_f64 v[70:71], v[124:125], -v[70:71]
	ds_read2_b64 v[20:23], v179 offset0:108 offset1:198
	ds_read2_b64 v[32:35], v180 offset0:84 offset1:174
	;; [unrolled: 1-line block ×3, first 2 shown]
	v_fma_f64 v[42:43], v[2:3], -0.5, v[100:101]
	ds_read2_b64 v[0:3], v182 offset0:36 offset1:126
	v_fma_f64 v[100:101], v[52:53], s[14:15], v[106:107]
	v_fma_f64 v[52:53], v[52:53], s[18:19], v[92:93]
	v_fma_f64 v[106:107], v[56:57], s[14:15], v[157:158]
	v_fma_f64 v[68:69], v[36:37], s[0:1], v[68:69]
	v_fma_f64 v[36:37], v[56:57], s[18:19], v[54:55]
	v_fma_f64 v[54:55], v[86:87], s[14:15], -v[108:109]
	v_add_f64 v[56:57], v[44:45], -v[16:17]
	v_add_f64 v[86:87], v[72:73], -v[14:15]
	v_add_f64 v[108:109], v[114:115], v[16:17]
	v_add_f64 v[92:93], v[153:154], v[155:156]
	;; [unrolled: 1-line block ×3, first 2 shown]
	v_add_f64 v[153:154], v[104:105], -v[6:7]
	v_fma_f64 v[6:7], v[116:117], s[16:17], v[126:127]
	v_fma_f64 v[104:105], v[116:117], s[20:21], v[126:127]
	v_add_f64 v[126:127], v[16:17], -v[44:45]
	v_add_f64 v[155:156], v[14:15], -v[72:73]
	v_add_f64 v[38:39], v[46:47], v[38:39]
	ds_read2_b64 v[44:47], v138 offset0:104 offset1:194
	ds_read2_b64 v[16:19], v185 offset0:160 offset1:250
	v_fma_f64 v[157:158], v[12:13], s[20:21], v[42:43]
	v_fma_f64 v[60:61], v[12:13], s[16:17], v[42:43]
	;; [unrolled: 1-line block ×4, first 2 shown]
	v_mul_f64 v[110:111], v[130:131], s[14:15]
	ds_read2_b64 v[40:43], v139 offset0:118 offset1:208
	v_add_f64 v[76:77], v[68:69], v[54:55]
	v_add_f64 v[54:55], v[68:69], -v[54:55]
	v_add_f64 v[56:57], v[56:57], v[86:87]
	v_add_f64 v[86:87], v[108:109], v[14:15]
	v_mul_f64 v[108:109], v[132:133], s[22:23]
	v_fma_f64 v[106:107], v[92:93], s[0:1], v[106:107]
	v_fma_f64 v[92:93], v[92:93], s[0:1], v[36:37]
	;; [unrolled: 1-line block ×4, first 2 shown]
	ds_read2_b64 v[12:15], v184 offset0:60 offset1:150
	v_add_f64 v[126:127], v[126:127], v[155:156]
	v_add_f64 v[130:131], v[38:39], v[4:5]
	ds_read2_b64 v[36:39], v183 offset0:132 offset1:222
	ds_read2_b64 v[4:7], v186 offset0:88 offset1:178
	s_waitcnt lgkmcnt(0)
	v_fma_f64 v[155:156], v[116:117], s[14:15], v[157:158]
	v_fma_f64 v[60:61], v[116:117], s[18:19], v[60:61]
	v_mul_f64 v[116:117], v[149:150], s[22:23]
	s_barrier
	v_fma_f64 v[110:111], v[128:129], s[22:23], v[110:111]
	buffer_gl0_inv
	v_add_f64 v[72:73], v[86:87], v[72:73]
	v_fma_f64 v[108:109], v[112:113], s[14:15], -v[108:109]
	v_add_f64 v[112:113], v[151:152], v[64:65]
	v_add_f64 v[86:87], v[62:63], v[102:103]
	v_fma_f64 v[118:119], v[56:57], s[0:1], v[132:133]
	v_fma_f64 v[132:133], v[134:135], s[22:23], v[136:137]
	;; [unrolled: 1-line block ×3, first 2 shown]
	v_add_f64 v[64:65], v[151:152], -v[64:65]
	v_add_f64 v[62:63], v[62:63], -v[102:103]
	v_add_f64 v[68:69], v[50:51], v[130:131]
	v_add_f64 v[50:51], v[50:51], -v[130:131]
	v_mul_lo_u16 v104, 0x89, v141
	v_fma_f64 v[128:129], v[126:127], s[0:1], v[155:156]
	v_fma_f64 v[60:61], v[126:127], s[0:1], v[60:61]
	v_fma_f64 v[96:97], v[147:148], s[14:15], -v[116:117]
	ds_write2_b64 v145, v[114:115], v[98:99] offset1:3
	ds_write2_b64 v145, v[112:113], v[86:87] offset0:6 offset1:9
	ds_write2_b64 v145, v[76:77], v[153:154] offset0:12 offset1:15
	v_add_f64 v[102:103], v[100:101], v[110:111]
	v_add_f64 v[100:101], v[100:101], -v[110:111]
	v_add_f64 v[110:111], v[106:107], v[94:95]
	v_add_f64 v[94:95], v[106:107], -v[94:95]
	;; [unrolled: 2-line block ×6, first 2 shown]
	v_add_f64 v[118:119], v[128:129], v[84:85]
	v_add_f64 v[124:125], v[60:61], v[80:81]
	;; [unrolled: 1-line block ×3, first 2 shown]
	v_lshrrev_b16 v104, 12, v104
	v_add_f64 v[84:85], v[128:129], -v[84:85]
	v_add_f64 v[60:61], v[60:61], -v[80:81]
	v_add_f64 v[56:57], v[56:57], -v[96:97]
	ds_write2_b64 v145, v[70:71], v[64:65] offset0:18 offset1:21
	ds_write2_b64 v145, v[62:63], v[54:55] offset0:24 offset1:27
	ds_write2_b64 v146, v[68:69], v[102:103] offset1:3
	v_mul_lo_u16 v77, v104, 30
	ds_write2_b64 v146, v[110:111], v[106:107] offset0:6 offset1:9
	ds_write2_b64 v146, v[92:93], v[50:51] offset0:12 offset1:15
	;; [unrolled: 1-line block ×4, first 2 shown]
	v_sub_nc_u16 v105, v160, v77
	v_mul_lo_u16 v76, 0x89, v142
	ds_write2_b64 v143, v[108:109], v[74:75] offset1:3
	ds_write2_b64 v143, v[118:119], v[124:125] offset0:6 offset1:9
	ds_write2_b64 v143, v[126:127], v[72:73] offset0:12 offset1:15
	;; [unrolled: 1-line block ×3, first 2 shown]
	v_mul_u32_u24_sdwa v50, v105, v140 dst_sel:DWORD dst_unused:UNUSED_PAD src0_sel:BYTE_0 src1_sel:DWORD
	v_lshrrev_b16 v196, 12, v76
	v_lshlrev_b32_sdwa v105, v192, v105 dst_sel:DWORD dst_unused:UNUSED_PAD src0_sel:DWORD src1_sel:BYTE_0
	ds_write2_b64 v143, v[60:61], v[56:57] offset0:24 offset1:27
	v_lshlrev_b32_e32 v72, 4, v50
	s_waitcnt lgkmcnt(0)
	s_barrier
	buffer_gl0_inv
	v_mul_lo_u16 v54, v196, 30
	global_load_dwordx4 v[50:53], v72, s[12:13] offset:480
	v_mov_b32_e32 v60, 0x8889
	v_sub_nc_u16 v197, v187, v54
	v_mul_u32_u24_sdwa v60, v188, v60 dst_sel:DWORD dst_unused:UNUSED_PAD src0_sel:WORD_0 src1_sel:DWORD
	v_mul_u32_u24_sdwa v54, v197, v140 dst_sel:DWORD dst_unused:UNUSED_PAD src0_sel:BYTE_0 src1_sel:DWORD
	v_lshrrev_b32_e32 v194, 20, v60
	v_lshlrev_b32_e32 v73, 4, v54
	s_clause 0x5
	global_load_dwordx4 v[54:57], v73, s[12:13] offset:480
	global_load_dwordx4 v[74:77], v72, s[12:13] offset:512
	;; [unrolled: 1-line block ×6, first 2 shown]
	v_mul_lo_u16 v60, v194, 30
	v_sub_nc_u16 v195, v188, v60
	v_mul_u32_u24_sdwa v60, v195, v140 dst_sel:DWORD dst_unused:UNUSED_PAD src0_sel:WORD_0 src1_sel:DWORD
	v_lshlrev_b32_e32 v193, 4, v60
	s_clause 0x9
	global_load_dwordx4 v[106:109], v193, s[12:13] offset:432
	global_load_dwordx4 v[110:113], v73, s[12:13] offset:448
	global_load_dwordx4 v[114:117], v193, s[12:13] offset:448
	global_load_dwordx4 v[124:127], v73, s[12:13] offset:464
	global_load_dwordx4 v[128:131], v193, s[12:13] offset:464
	global_load_dwordx4 v[132:135], v72, s[12:13] offset:496
	global_load_dwordx4 v[140:143], v193, s[12:13] offset:480
	global_load_dwordx4 v[144:147], v73, s[12:13] offset:496
	global_load_dwordx4 v[148:151], v193, s[12:13] offset:496
	global_load_dwordx4 v[152:155], v72, s[12:13] offset:528
	ds_read2_b64 v[62:65], v174 offset0:56 offset1:146
	ds_read2_b64 v[156:159], v180 offset0:84 offset1:174
	s_waitcnt vmcnt(16) lgkmcnt(1)
	v_mul_f64 v[60:61], v[62:63], v[52:53]
	v_mul_f64 v[52:53], v[24:25], v[52:53]
	v_fma_f64 v[66:67], v[24:25], v[50:51], -v[60:61]
	v_fma_f64 v[62:63], v[62:63], v[50:51], v[52:53]
	s_waitcnt vmcnt(15)
	v_mul_f64 v[24:25], v[64:65], v[56:57]
	v_mul_f64 v[50:51], v[26:27], v[56:57]
	v_fma_f64 v[52:53], v[26:27], v[54:55], -v[24:25]
	v_fma_f64 v[26:27], v[64:65], v[54:55], v[50:51]
	s_waitcnt vmcnt(14) lgkmcnt(0)
	v_mul_f64 v[24:25], v[156:157], v[76:77]
	v_mul_f64 v[50:51], v[32:33], v[76:77]
	s_waitcnt vmcnt(13)
	v_mul_f64 v[54:55], v[158:159], v[86:87]
	v_fma_f64 v[68:69], v[32:33], v[74:75], -v[24:25]
	v_fma_f64 v[64:65], v[156:157], v[74:75], v[50:51]
	ds_read2_b64 v[74:77], v181 offset0:112 offset1:202
	v_mul_f64 v[24:25], v[34:35], v[86:87]
	v_fma_f64 v[32:33], v[34:35], v[84:85], -v[54:55]
	s_waitcnt vmcnt(12)
	v_mul_f64 v[50:51], v[28:29], v[94:95]
	s_waitcnt lgkmcnt(0)
	v_mul_f64 v[34:35], v[74:75], v[94:95]
	s_waitcnt vmcnt(11)
	v_mul_f64 v[54:55], v[76:77], v[98:99]
	v_fma_f64 v[24:25], v[158:159], v[84:85], v[24:25]
	ds_read2_b64 v[84:87], v138 offset0:104 offset1:194
	global_load_dwordx4 v[156:159], v193, s[12:13] offset:512
	v_fma_f64 v[56:57], v[74:75], v[92:93], v[50:51]
	v_fma_f64 v[70:71], v[28:29], v[92:93], -v[34:35]
	v_mul_f64 v[28:29], v[30:31], v[98:99]
	v_fma_f64 v[54:55], v[30:31], v[96:97], -v[54:55]
	s_waitcnt vmcnt(11) lgkmcnt(0)
	v_mul_f64 v[30:31], v[84:85], v[102:103]
	v_mul_f64 v[34:35], v[44:45], v[102:103]
	s_waitcnt vmcnt(10)
	v_mul_f64 v[98:99], v[46:47], v[108:109]
	ds_read2_b64 v[92:95], v183 offset0:132 offset1:222
	v_fma_f64 v[50:51], v[76:77], v[96:97], v[28:29]
	v_mul_f64 v[28:29], v[86:87], v[108:109]
	ds_read2_b64 v[74:77], v139 offset0:118 offset1:208
	v_fma_f64 v[96:97], v[44:45], v[100:101], -v[30:31]
	v_fma_f64 v[60:61], v[84:85], v[100:101], v[34:35]
	s_waitcnt vmcnt(9)
	v_mul_f64 v[84:85], v[40:41], v[112:113]
	global_load_dwordx4 v[136:139], v193, s[12:13] offset:528
	ds_read2_b64 v[100:103], v179 offset0:108 offset1:198
	v_fma_f64 v[34:35], v[86:87], v[106:107], v[98:99]
	s_waitcnt lgkmcnt(1)
	v_mul_f64 v[30:31], v[74:75], v[112:113]
	v_fma_f64 v[80:81], v[46:47], v[106:107], -v[28:29]
	s_waitcnt vmcnt(9)
	v_mul_f64 v[28:29], v[76:77], v[116:117]
	v_mul_f64 v[46:47], v[42:43], v[116:117]
	global_load_dwordx4 v[116:119], v73, s[12:13] offset:528
	s_waitcnt vmcnt(7) lgkmcnt(0)
	v_mul_f64 v[86:87], v[102:103], v[134:135]
	v_fma_f64 v[44:45], v[40:41], v[110:111], -v[30:31]
	v_fma_f64 v[30:31], v[74:75], v[110:111], v[84:85]
	v_mul_f64 v[74:75], v[92:93], v[126:127]
	v_mul_f64 v[84:85], v[36:37], v[126:127]
	v_fma_f64 v[40:41], v[42:43], v[114:115], -v[28:29]
	v_mul_f64 v[42:43], v[94:95], v[130:131]
	v_fma_f64 v[28:29], v[76:77], v[114:115], v[46:47]
	v_mul_f64 v[46:47], v[38:39], v[130:131]
	v_fma_f64 v[108:109], v[22:23], v[132:133], -v[86:87]
	v_fma_f64 v[98:99], v[36:37], v[124:125], -v[74:75]
	v_fma_f64 v[36:37], v[92:93], v[124:125], v[84:85]
	v_mul_f64 v[92:93], v[22:23], v[134:135]
	global_load_dwordx4 v[124:127], v72, s[12:13] offset:432
	ds_read2_b64 v[74:77], v185 offset0:160 offset1:250
	v_fma_f64 v[84:85], v[38:39], v[128:129], -v[42:43]
	v_fma_f64 v[42:43], v[94:95], v[128:129], v[46:47]
	global_load_dwordx4 v[128:131], v72, s[12:13] offset:448
	s_waitcnt vmcnt(8)
	v_mul_f64 v[46:47], v[100:101], v[142:143]
	v_mul_f64 v[94:95], v[20:21], v[142:143]
	v_fma_f64 v[38:39], v[102:103], v[132:133], v[92:93]
	s_waitcnt vmcnt(7) lgkmcnt(0)
	v_mul_f64 v[86:87], v[74:75], v[146:147]
	v_mul_f64 v[92:93], v[16:17], v[146:147]
	ds_read2_b64 v[132:135], v178 offset0:8 offset1:98
	v_fma_f64 v[22:23], v[20:21], v[140:141], -v[46:47]
	s_waitcnt vmcnt(6)
	v_mul_f64 v[46:47], v[76:77], v[150:151]
	v_fma_f64 v[20:21], v[100:101], v[140:141], v[94:95]
	global_load_dwordx4 v[140:143], v72, s[12:13] offset:560
	v_fma_f64 v[100:101], v[16:17], v[144:145], -v[86:87]
	v_fma_f64 v[16:17], v[74:75], v[144:145], v[92:93]
	global_load_dwordx4 v[144:147], v72, s[12:13] offset:464
	v_mul_f64 v[74:75], v[18:19], v[150:151]
	s_waitcnt vmcnt(7)
	v_mul_f64 v[86:87], v[10:11], v[154:155]
	v_fma_f64 v[92:93], v[18:19], v[148:149], -v[46:47]
	s_waitcnt lgkmcnt(0)
	v_mul_f64 v[46:47], v[134:135], v[154:155]
	v_fma_f64 v[18:19], v[76:77], v[148:149], v[74:75]
	s_clause 0x1
	global_load_dwordx4 v[148:151], v193, s[12:13] offset:544
	global_load_dwordx4 v[198:201], v73, s[12:13] offset:560
	v_fma_f64 v[76:77], v[134:135], v[152:153], v[86:87]
	ds_read2_b64 v[72:75], v184 offset0:60 offset1:150
	v_fma_f64 v[112:113], v[10:11], v[152:153], -v[46:47]
	global_load_dwordx4 v[152:155], v193, s[12:13] offset:560
	v_add_f64 v[134:135], v[38:39], v[76:77]
	s_waitcnt vmcnt(9)
	v_mul_f64 v[10:11], v[132:133], v[158:159]
	v_fma_f64 v[46:47], v[8:9], v[156:157], -v[10:11]
	v_mul_f64 v[8:9], v[8:9], v[158:159]
	v_fma_f64 v[8:9], v[132:133], v[156:157], v[8:9]
	v_add_f64 v[132:133], v[66:67], v[68:69]
	s_waitcnt vmcnt(7) lgkmcnt(0)
	v_mul_f64 v[10:11], v[72:73], v[118:119]
	v_mul_f64 v[86:87], v[12:13], v[118:119]
	v_fma_f64 v[110:111], v[12:13], v[116:117], -v[10:11]
	v_mul_f64 v[10:11], v[74:75], v[138:139]
	v_fma_f64 v[12:13], v[72:73], v[116:117], v[86:87]
	v_mul_f64 v[72:73], v[14:15], v[138:139]
	ds_read_b64 v[86:87], v191
	v_fma_f64 v[94:95], v[14:15], v[136:137], -v[10:11]
	s_waitcnt vmcnt(6) lgkmcnt(0)
	v_mul_f64 v[14:15], v[86:87], v[126:127]
	v_fma_f64 v[10:11], v[74:75], v[136:137], v[72:73]
	v_mul_f64 v[72:73], v[90:91], v[126:127]
	ds_read_b64 v[74:75], v189
	ds_read2_b64 v[116:119], v182 offset0:36 offset1:126
	v_fma_f64 v[114:115], v[90:91], v[124:125], -v[14:15]
	s_waitcnt vmcnt(5) lgkmcnt(1)
	v_mul_f64 v[14:15], v[74:75], v[130:131]
	v_fma_f64 v[86:87], v[86:87], v[124:125], v[72:73]
	v_mul_f64 v[72:73], v[88:89], v[130:131]
	ds_read_b64 v[90:91], v190
	s_waitcnt vmcnt(4) lgkmcnt(1)
	v_mul_f64 v[102:103], v[118:119], v[142:143]
	v_mul_f64 v[106:107], v[2:3], v[142:143]
	v_fma_f64 v[88:89], v[88:89], v[128:129], -v[14:15]
	s_waitcnt vmcnt(3) lgkmcnt(0)
	v_mul_f64 v[14:15], v[90:91], v[146:147]
	v_fma_f64 v[74:75], v[74:75], v[128:129], v[72:73]
	ds_read2_b64 v[128:131], v186 offset0:88 offset1:178
	v_mul_f64 v[124:125], v[82:83], v[146:147]
	v_fma_f64 v[138:139], v[134:135], -0.5, v[86:87]
	v_fma_f64 v[156:157], v[2:3], v[140:141], -v[102:103]
	v_fma_f64 v[72:73], v[118:119], v[140:141], v[106:107]
	v_fma_f64 v[146:147], v[132:133], -0.5, v[78:79]
	v_add_f64 v[136:137], v[78:79], v[88:89]
	s_waitcnt vmcnt(2)
	v_mul_f64 v[2:3], v[116:117], v[150:151]
	v_mul_f64 v[102:103], v[0:1], v[150:151]
	v_fma_f64 v[158:159], v[82:83], v[144:145], -v[14:15]
	s_waitcnt vmcnt(1) lgkmcnt(0)
	v_mul_f64 v[82:83], v[128:129], v[200:201]
	v_mul_f64 v[106:107], v[4:5], v[200:201]
	v_fma_f64 v[90:91], v[90:91], v[144:145], v[124:125]
	s_waitcnt vmcnt(0)
	v_mul_f64 v[118:119], v[130:131], v[154:155]
	v_mul_f64 v[124:125], v[6:7], v[154:155]
	v_add_f64 v[144:145], v[62:63], -v[64:65]
	v_add_f64 v[150:151], v[38:39], -v[76:77]
	v_fma_f64 v[14:15], v[0:1], v[148:149], -v[2:3]
	v_fma_f64 v[0:1], v[116:117], v[148:149], v[102:103]
	v_add_f64 v[116:117], v[156:157], -v[112:113]
	v_fma_f64 v[126:127], v[4:5], v[198:199], -v[82:83]
	v_fma_f64 v[4:5], v[128:129], v[198:199], v[106:107]
	;; [unrolled: 3-line block ×3, first 2 shown]
	v_add_f64 v[6:7], v[88:89], -v[66:67]
	v_add_f64 v[82:83], v[70:71], -v[68:69]
	;; [unrolled: 1-line block ×5, first 2 shown]
	v_add_f64 v[132:133], v[114:115], v[158:159]
	v_add_f64 v[148:149], v[74:75], -v[56:57]
	v_add_f64 v[154:155], v[90:91], -v[72:73]
	v_mov_b32_e32 v198, 0x960
	v_mul_u32_u24_sdwa v104, v104, v198 dst_sel:DWORD dst_unused:UNUSED_PAD src0_sel:WORD_0 src1_sel:DWORD
	v_add3_u32 v193, 0, v104, v105
	v_add_f64 v[118:119], v[106:107], v[116:117]
	v_add_f64 v[106:107], v[108:109], v[112:113]
	;; [unrolled: 1-line block ×5, first 2 shown]
	v_fma_f64 v[116:117], v[142:143], s[16:17], v[138:139]
	v_add_f64 v[130:131], v[108:109], -v[112:113]
	v_add_f64 v[82:83], v[132:133], v[108:109]
	v_fma_f64 v[104:105], v[148:149], s[20:21], v[146:147]
	v_add_f64 v[108:109], v[108:109], -v[158:159]
	v_fma_f64 v[146:147], v[148:149], s[16:17], v[146:147]
	v_fma_f64 v[138:139], v[142:143], s[20:21], v[138:139]
	v_fma_f64 v[152:153], v[106:107], -0.5, v[114:115]
	v_add_f64 v[132:133], v[6:7], v[68:69]
	v_fma_f64 v[6:7], v[130:131], s[14:15], v[116:117]
	v_add_f64 v[82:83], v[82:83], v[112:113]
	v_fma_f64 v[104:105], v[144:145], s[18:19], v[104:105]
	v_add_f64 v[112:113], v[112:113], -v[156:157]
	v_fma_f64 v[106:107], v[154:155], s[20:21], v[152:153]
	v_fma_f64 v[152:153], v[154:155], s[16:17], v[152:153]
	v_add_f64 v[134:135], v[132:133], v[70:71]
	v_fma_f64 v[6:7], v[128:129], s[0:1], v[6:7]
	v_add_f64 v[136:137], v[82:83], v[156:157]
	v_fma_f64 v[132:133], v[124:125], s[0:1], v[104:105]
	v_fma_f64 v[106:107], v[150:151], s[18:19], v[106:107]
	v_mul_f64 v[104:105], v[6:7], s[18:19]
	v_add_f64 v[199:200], v[134:135], v[136:137]
	v_fma_f64 v[82:83], v[118:119], s[0:1], v[106:107]
	v_fma_f64 v[140:141], v[82:83], s[22:23], v[104:105]
	ds_read_b64 v[104:105], v173
	ds_read_b64 v[116:117], v171
	;; [unrolled: 1-line block ×3, first 2 shown]
	s_waitcnt lgkmcnt(0)
	s_barrier
	buffer_gl0_inv
	v_mul_f64 v[82:83], v[82:83], s[14:15]
	v_add_f64 v[201:202], v[132:133], v[140:141]
	v_add_f64 v[132:133], v[132:133], -v[140:141]
	v_fma_f64 v[6:7], v[6:7], s[22:23], v[82:83]
	ds_write2_b64 v193, v[199:200], v[201:202] offset1:30
	v_add_f64 v[199:200], v[88:89], v[70:71]
	v_add_f64 v[201:202], v[68:69], -v[70:71]
	v_add_f64 v[70:71], v[88:89], -v[70:71]
	v_fma_f64 v[78:79], v[199:200], -0.5, v[78:79]
	v_add_f64 v[199:200], v[66:67], -v[88:89]
	v_add_f64 v[88:89], v[56:57], -v[64:65]
	v_add_f64 v[199:200], v[199:200], v[201:202]
	v_add_f64 v[201:202], v[158:159], v[156:157]
	v_fma_f64 v[156:157], v[144:145], s[16:17], v[78:79]
	v_fma_f64 v[78:79], v[144:145], s[20:21], v[78:79]
	;; [unrolled: 1-line block ×3, first 2 shown]
	v_fma_f64 v[114:115], v[201:202], -0.5, v[114:115]
	v_fma_f64 v[156:157], v[148:149], s[18:19], v[156:157]
	v_fma_f64 v[78:79], v[148:149], s[14:15], v[78:79]
	v_add_f64 v[147:148], v[30:31], -v[50:51]
	v_fma_f64 v[156:157], v[199:200], s[0:1], v[156:157]
	v_fma_f64 v[158:159], v[199:200], s[0:1], v[78:79]
	v_add_f64 v[78:79], v[108:109], v[112:113]
	v_fma_f64 v[108:109], v[150:151], s[16:17], v[114:115]
	v_fma_f64 v[112:113], v[150:151], s[20:21], v[114:115]
	v_add_f64 v[114:115], v[76:77], -v[72:73]
	v_fma_f64 v[108:109], v[154:155], s[18:19], v[108:109]
	v_fma_f64 v[112:113], v[154:155], s[14:15], v[112:113]
	;; [unrolled: 1-line block ×4, first 2 shown]
	v_add_f64 v[112:113], v[38:39], -v[90:91]
	v_add_f64 v[114:115], v[112:113], v[114:115]
	v_add_f64 v[112:113], v[90:91], v[72:73]
	v_fma_f64 v[112:113], v[112:113], -0.5, v[86:87]
	v_add_f64 v[86:87], v[86:87], v[90:91]
	v_fma_f64 v[199:200], v[130:131], s[20:21], v[112:113]
	v_fma_f64 v[112:113], v[130:131], s[16:17], v[112:113]
	;; [unrolled: 1-line block ×4, first 2 shown]
	v_add_f64 v[145:146], v[126:127], -v[110:111]
	v_add_f64 v[38:39], v[86:87], v[38:39]
	v_add_f64 v[86:87], v[74:75], -v[62:63]
	v_fma_f64 v[199:200], v[142:143], s[14:15], v[199:200]
	v_fma_f64 v[201:202], v[142:143], s[18:19], v[112:113]
	;; [unrolled: 1-line block ×4, first 2 shown]
	v_add_f64 v[128:129], v[134:135], -v[136:137]
	v_add_f64 v[38:39], v[38:39], v[76:77]
	v_add_f64 v[76:77], v[86:87], v[88:89]
	;; [unrolled: 1-line block ×3, first 2 shown]
	v_fma_f64 v[112:113], v[114:115], s[0:1], v[199:200]
	v_fma_f64 v[114:115], v[114:115], s[0:1], v[201:202]
	;; [unrolled: 1-line block ×3, first 2 shown]
	v_mul_f64 v[201:202], v[78:79], s[0:1]
	v_add_nc_u32_e32 v142, 0x400, v193
	v_add_f64 v[143:144], v[54:55], -v[32:33]
	v_add_f64 v[72:73], v[38:39], v[72:73]
	v_fma_f64 v[86:87], v[86:87], -0.5, v[116:117]
	v_mul_f64 v[199:200], v[112:113], s[20:21]
	v_mul_f64 v[130:131], v[118:119], s[22:23]
	v_fma_f64 v[201:202], v[114:115], s[20:21], -v[201:202]
	v_mul_f64 v[114:115], v[114:115], s[0:1]
	v_fma_f64 v[199:200], v[108:109], s[0:1], v[199:200]
	v_mul_f64 v[108:109], v[108:109], s[16:17]
	v_fma_f64 v[130:131], v[124:125], s[18:19], -v[130:131]
	v_add_f64 v[140:141], v[158:159], -v[201:202]
	v_add_f64 v[205:206], v[158:159], v[201:202]
	v_fma_f64 v[78:79], v[78:79], s[16:17], -v[114:115]
	v_add_f64 v[114:115], v[24:25], -v[50:51]
	v_add_f64 v[203:204], v[156:157], v[199:200]
	v_add_f64 v[136:137], v[156:157], -v[199:200]
	v_add_f64 v[134:135], v[138:139], v[130:131]
	v_add_f64 v[130:131], v[138:139], -v[130:131]
	v_add_f64 v[138:139], v[44:45], -v[52:53]
	;; [unrolled: 1-line block ×5, first 2 shown]
	ds_write2_b64 v193, v[203:204], v[205:206] offset0:60 offset1:90
	ds_write2_b64 v193, v[132:133], v[136:137] offset0:180 offset1:210
	;; [unrolled: 1-line block ×3, first 2 shown]
	v_add_f64 v[128:129], v[52:53], v[32:33]
	ds_write2_b64 v142, v[140:141], v[130:131] offset0:112 offset1:142
	v_add_f64 v[134:135], v[98:99], -v[100:101]
	v_add_f64 v[132:133], v[138:139], v[143:144]
	v_add_f64 v[130:131], v[36:37], -v[16:17]
	v_add_f64 v[136:137], v[4:5], -v[12:13]
	v_add_f64 v[138:139], v[58:59], v[44:45]
	v_mul_u32_u24_sdwa v143, v196, v198 dst_sel:DWORD dst_unused:UNUSED_PAD src0_sel:WORD_0 src1_sel:DWORD
	v_fma_f64 v[140:141], v[128:129], -0.5, v[58:59]
	v_add_f64 v[128:129], v[96:97], v[98:99]
	v_add_f64 v[134:135], v[134:135], v[145:146]
	v_lshlrev_b32_sdwa v146, v192, v197 dst_sel:DWORD dst_unused:UNUSED_PAD src0_sel:DWORD src1_sel:BYTE_0
	v_add_f64 v[196:197], v[36:37], -v[4:5]
	v_add_f64 v[136:137], v[130:131], v[136:137]
	v_add_f64 v[130:131], v[138:139], v[52:53]
	v_add_f64 v[144:145], v[26:27], -v[24:25]
	v_add3_u32 v143, 0, v143, v146
	v_fma_f64 v[138:139], v[147:148], s[20:21], v[140:141]
	v_add_f64 v[128:129], v[128:129], v[100:101]
	v_fma_f64 v[140:141], v[147:148], s[16:17], v[140:141]
	v_add_f64 v[130:131], v[130:131], v[32:33]
	;; [unrolled: 2-line block ×3, first 2 shown]
	v_add_f64 v[128:129], v[100:101], v[110:111]
	v_fma_f64 v[140:141], v[144:145], s[14:15], v[140:141]
	v_add_f64 v[202:203], v[130:131], v[54:55]
	v_fma_f64 v[138:139], v[132:133], s[0:1], v[138:139]
	v_add_f64 v[149:150], v[149:150], v[126:127]
	v_fma_f64 v[151:152], v[128:129], -0.5, v[96:97]
	v_add_f64 v[128:129], v[16:17], v[12:13]
	v_add_f64 v[204:205], v[202:203], v[149:150]
	v_fma_f64 v[198:199], v[196:197], s[20:21], v[151:152]
	v_fma_f64 v[153:154], v[128:129], -0.5, v[60:61]
	v_fma_f64 v[198:199], v[200:201], s[18:19], v[198:199]
	v_fma_f64 v[128:129], v[155:156], s[16:17], v[153:154]
	;; [unrolled: 1-line block ×5, first 2 shown]
	v_mul_f64 v[198:199], v[128:129], s[18:19]
	v_fma_f64 v[198:199], v[130:131], s[22:23], v[198:199]
	v_add_f64 v[206:207], v[138:139], v[198:199]
	ds_write2_b64 v143, v[204:205], v[206:207] offset1:30
	v_add_f64 v[204:205], v[44:45], v[54:55]
	v_add_f64 v[206:207], v[32:33], -v[54:55]
	v_fma_f64 v[58:59], v[204:205], -0.5, v[58:59]
	v_add_f64 v[204:205], v[52:53], -v[44:45]
	v_add_f64 v[52:53], v[52:53], -v[32:33]
	v_add_f64 v[204:205], v[204:205], v[206:207]
	v_add_f64 v[206:207], v[98:99], v[126:127]
	v_add_f64 v[98:99], v[100:101], -v[98:99]
	v_add_f64 v[100:101], v[110:111], -v[126:127]
	v_fma_f64 v[110:111], v[144:145], s[16:17], v[58:59]
	v_fma_f64 v[58:59], v[144:145], s[20:21], v[58:59]
	v_fma_f64 v[96:97], v[206:207], -0.5, v[96:97]
	v_add_f64 v[100:101], v[98:99], v[100:101]
	v_fma_f64 v[110:111], v[147:148], s[18:19], v[110:111]
	v_fma_f64 v[58:59], v[147:148], s[14:15], v[58:59]
	;; [unrolled: 1-line block ×6, first 2 shown]
	v_add_f64 v[110:111], v[12:13], -v[4:5]
	v_fma_f64 v[58:59], v[204:205], s[0:1], v[58:59]
	v_fma_f64 v[144:145], v[157:158], s[18:19], v[146:147]
	v_add_f64 v[146:147], v[14:15], -v[46:47]
	v_fma_f64 v[98:99], v[196:197], s[18:19], v[98:99]
	v_fma_f64 v[96:97], v[196:197], s[14:15], v[96:97]
	;; [unrolled: 1-line block ×4, first 2 shown]
	v_add_f64 v[100:101], v[16:17], -v[36:37]
	v_add_f64 v[110:111], v[100:101], v[110:111]
	v_add_f64 v[100:101], v[36:37], v[4:5]
	;; [unrolled: 1-line block ×3, first 2 shown]
	v_fma_f64 v[100:101], v[100:101], -0.5, v[60:61]
	v_add_f64 v[16:17], v[36:37], v[16:17]
	v_fma_f64 v[126:127], v[157:158], s[20:21], v[100:101]
	v_fma_f64 v[100:101], v[157:158], s[16:17], v[100:101]
	v_add_f64 v[12:13], v[16:17], v[12:13]
	v_add_f64 v[16:17], v[104:105], v[28:29]
	v_fma_f64 v[126:127], v[155:156], s[14:15], v[126:127]
	v_fma_f64 v[204:205], v[155:156], s[18:19], v[100:101]
	v_add_f64 v[4:5], v[12:13], v[4:5]
	v_add_f64 v[16:17], v[16:17], v[20:21]
	v_fma_f64 v[100:101], v[110:111], s[0:1], v[126:127]
	v_fma_f64 v[126:127], v[110:111], s[0:1], v[204:205]
	v_mul_f64 v[110:111], v[100:101], s[20:21]
	v_fma_f64 v[204:205], v[98:99], s[0:1], v[110:111]
	v_mul_f64 v[110:111], v[96:97], s[0:1]
	v_mul_f64 v[98:99], v[98:99], s[16:17]
	v_fma_f64 v[208:209], v[126:127], s[20:21], -v[110:111]
	v_add_f64 v[110:111], v[206:207], v[204:205]
	v_mul_f64 v[126:127], v[126:127], s[0:1]
	v_fma_f64 v[98:99], v[100:101], s[0:1], v[98:99]
	v_add_f64 v[210:211], v[58:59], v[208:209]
	v_add_f64 v[58:59], v[58:59], -v[208:209]
	v_fma_f64 v[96:97], v[96:97], s[16:17], -v[126:127]
	ds_write2_b64 v143, v[110:111], v[210:211] offset0:60 offset1:90
	v_fma_f64 v[110:111], v[196:197], s[16:17], v[151:152]
	v_add_f64 v[196:197], v[92:93], -v[94:95]
	v_add_f64 v[152:153], v[20:21], -v[8:9]
	v_fma_f64 v[110:111], v[200:201], s[14:15], v[110:111]
	v_fma_f64 v[110:111], v[134:135], s[0:1], v[110:111]
	;; [unrolled: 1-line block ×4, first 2 shown]
	v_add_f64 v[136:137], v[202:203], -v[149:150]
	v_add_f64 v[148:149], v[22:23], v[46:47]
	v_add_f64 v[202:203], v[18:19], -v[10:11]
	v_mul_f64 v[140:141], v[110:111], s[22:23]
	v_fma_f64 v[140:141], v[132:133], s[18:19], -v[140:141]
	v_add_f64 v[144:145], v[134:135], v[140:141]
	v_add_f64 v[134:135], v[134:135], -v[140:141]
	v_add_f64 v[140:141], v[40:41], -v[22:23]
	ds_write2_b64 v143, v[144:145], v[136:137] offset0:120 offset1:150
	v_add_f64 v[136:137], v[138:139], -v[198:199]
	v_add_f64 v[138:139], v[206:207], -v[204:205]
	v_add_nc_u32_e32 v145, 0x400, v143
	ds_write2_b64 v143, v[136:137], v[138:139] offset0:180 offset1:210
	ds_write2_b64 v145, v[58:59], v[134:135] offset0:112 offset1:142
	v_add_f64 v[58:59], v[140:141], v[146:147]
	v_add_f64 v[134:135], v[84:85], -v[92:93]
	v_add_f64 v[136:137], v[102:103], -v[94:95]
	v_add_f64 v[146:147], v[48:49], v[40:41]
	v_add_f64 v[138:139], v[42:43], -v[18:19]
	v_add_f64 v[140:141], v[2:3], -v[10:11]
	v_mul_u32_u24_e32 v144, 0x960, v194
	v_add_f64 v[198:199], v[42:43], -v[2:3]
	v_add_f64 v[150:151], v[134:135], v[136:137]
	v_add_f64 v[134:135], v[146:147], v[22:23]
	;; [unrolled: 1-line block ×4, first 2 shown]
	v_fma_f64 v[140:141], v[148:149], -0.5, v[48:49]
	v_lshlrev_b32_sdwa v148, v192, v195 dst_sel:DWORD dst_unused:UNUSED_PAD src0_sel:DWORD src1_sel:WORD_0
	v_add_f64 v[194:195], v[84:85], -v[102:103]
	v_add_f64 v[146:147], v[28:29], -v[0:1]
	v_add3_u32 v144, 0, v144, v148
	v_add_f64 v[148:149], v[134:135], v[46:47]
	v_add_f64 v[134:135], v[136:137], v[92:93]
	v_fma_f64 v[136:137], v[146:147], s[20:21], v[140:141]
	v_fma_f64 v[140:141], v[146:147], s[16:17], v[140:141]
	v_add_f64 v[148:149], v[148:149], v[14:15]
	v_add_f64 v[154:155], v[134:135], v[94:95]
	;; [unrolled: 1-line block ×3, first 2 shown]
	v_fma_f64 v[136:137], v[152:153], s[18:19], v[136:137]
	v_fma_f64 v[140:141], v[152:153], s[14:15], v[140:141]
	v_add_f64 v[154:155], v[154:155], v[102:103]
	v_fma_f64 v[156:157], v[134:135], -0.5, v[80:81]
	v_add_f64 v[134:135], v[18:19], v[10:11]
	v_fma_f64 v[204:205], v[58:59], s[0:1], v[136:137]
	v_fma_f64 v[58:59], v[58:59], s[0:1], v[140:141]
	v_add_f64 v[206:207], v[148:149], v[154:155]
	v_fma_f64 v[200:201], v[198:199], s[20:21], v[156:157]
	v_fma_f64 v[158:159], v[134:135], -0.5, v[34:35]
	v_fma_f64 v[156:157], v[198:199], s[16:17], v[156:157]
	v_fma_f64 v[200:201], v[202:203], s[18:19], v[200:201]
	;; [unrolled: 1-line block ×8, first 2 shown]
	v_mul_f64 v[90:91], v[150:151], s[22:23]
	v_mul_f64 v[200:201], v[134:135], s[18:19]
	v_fma_f64 v[200:201], v[136:137], s[22:23], v[200:201]
	v_mul_f64 v[136:137], v[136:137], s[14:15]
	v_add_f64 v[208:209], v[204:205], v[200:201]
	v_add_f64 v[140:141], v[204:205], -v[200:201]
	ds_write2_b64 v144, v[206:207], v[208:209] offset1:30
	v_add_f64 v[206:207], v[40:41], v[14:15]
	v_add_f64 v[208:209], v[46:47], -v[14:15]
	v_add_f64 v[14:15], v[40:41], -v[14:15]
	;; [unrolled: 1-line block ×3, first 2 shown]
	v_fma_f64 v[48:49], v[206:207], -0.5, v[48:49]
	v_add_f64 v[206:207], v[22:23], -v[40:41]
	v_add_f64 v[40:41], v[30:31], -v[26:27]
	;; [unrolled: 1-line block ×3, first 2 shown]
	v_add_f64 v[206:207], v[206:207], v[208:209]
	v_add_f64 v[208:209], v[84:85], v[102:103]
	v_add_f64 v[84:85], v[92:93], -v[84:85]
	v_add_f64 v[92:93], v[94:95], -v[102:103]
	v_fma_f64 v[94:95], v[152:153], s[16:17], v[48:49]
	v_fma_f64 v[48:49], v[152:153], s[20:21], v[48:49]
	v_add_f64 v[102:103], v[10:11], -v[2:3]
	v_add_f64 v[152:153], v[28:29], v[0:1]
	v_add_f64 v[40:41], v[40:41], v[22:23]
	v_fma_f64 v[80:81], v[208:209], -0.5, v[80:81]
	v_add_f64 v[92:93], v[84:85], v[92:93]
	v_fma_f64 v[94:95], v[146:147], s[18:19], v[94:95]
	v_fma_f64 v[48:49], v[146:147], s[14:15], v[48:49]
	;; [unrolled: 1-line block ×11, first 2 shown]
	v_add_f64 v[138:139], v[148:149], -v[154:155]
	v_add_f64 v[154:155], v[44:45], -v[54:55]
	v_fma_f64 v[84:85], v[92:93], s[0:1], v[84:85]
	v_fma_f64 v[80:81], v[92:93], s[0:1], v[80:81]
	v_add_f64 v[92:93], v[18:19], -v[42:43]
	v_fma_f64 v[90:91], v[146:147], s[18:19], -v[90:91]
	v_add_f64 v[102:103], v[92:93], v[102:103]
	v_add_f64 v[92:93], v[42:43], v[2:3]
	;; [unrolled: 1-line block ×3, first 2 shown]
	v_add_f64 v[58:59], v[58:59], -v[90:91]
	v_add_f64 v[90:91], v[66:67], -v[68:69]
	v_add_f64 v[66:67], v[62:63], v[64:65]
	v_add_f64 v[68:69], v[116:117], v[74:75]
	v_fma_f64 v[92:93], v[92:93], -0.5, v[34:35]
	v_add_f64 v[34:35], v[34:35], v[42:43]
	v_fma_f64 v[66:67], v[66:67], -0.5, v[116:117]
	v_add_f64 v[68:69], v[68:69], v[62:63]
	v_add_f64 v[62:63], v[62:63], -v[74:75]
	v_fma_f64 v[74:75], v[90:91], s[20:21], v[86:87]
	v_fma_f64 v[86:87], v[90:91], s[16:17], v[86:87]
	;; [unrolled: 1-line block ×4, first 2 shown]
	v_add_f64 v[158:159], v[34:35], v[18:19]
	v_fma_f64 v[88:89], v[70:71], s[16:17], v[66:67]
	v_add_f64 v[68:69], v[68:69], v[64:65]
	v_add_f64 v[64:65], v[64:65], -v[56:57]
	v_fma_f64 v[82:83], v[70:71], s[18:19], v[86:87]
	v_fma_f64 v[86:87], v[70:71], s[20:21], v[66:67]
	;; [unrolled: 1-line block ×4, first 2 shown]
	v_add_nc_u32_e32 v194, 0x400, v144
	v_fma_f64 v[88:89], v[90:91], s[14:15], v[88:89]
	v_add_f64 v[56:57], v[68:69], v[56:57]
	v_add_f64 v[38:39], v[62:63], v[64:65]
	v_fma_f64 v[86:87], v[90:91], s[18:19], v[86:87]
	v_mul_f64 v[90:91], v[124:125], s[22:23]
	v_add_f64 v[124:125], v[106:107], v[30:31]
	v_fma_f64 v[92:93], v[102:103], s[0:1], v[206:207]
	v_fma_f64 v[102:103], v[102:103], s[0:1], v[208:209]
	v_mul_f64 v[208:209], v[80:81], s[0:1]
	v_fma_f64 v[82:83], v[38:39], s[0:1], v[82:83]
	v_fma_f64 v[42:43], v[76:77], s[0:1], v[86:87]
	v_fma_f64 v[90:91], v[118:119], s[14:15], -v[90:91]
	v_add_f64 v[86:87], v[124:125], v[26:27]
	v_mul_f64 v[206:207], v[92:93], s[20:21]
	v_fma_f64 v[208:209], v[102:103], s[20:21], -v[208:209]
	v_mul_f64 v[102:103], v[102:103], s[0:1]
	v_add_f64 v[100:101], v[82:83], v[78:79]
	v_add_f64 v[78:79], v[82:83], -v[78:79]
	v_add_f64 v[86:87], v[86:87], v[24:25]
	v_fma_f64 v[206:207], v[84:85], s[0:1], v[206:207]
	v_mul_f64 v[84:85], v[84:85], s[16:17]
	v_add_f64 v[212:213], v[48:49], v[208:209]
	v_add_f64 v[48:49], v[48:49], -v[208:209]
	v_fma_f64 v[80:81], v[80:81], s[16:17], -v[102:103]
	v_add_f64 v[210:211], v[94:95], v[206:207]
	v_add_f64 v[94:95], v[94:95], -v[206:207]
	v_fma_f64 v[84:85], v[92:93], s[0:1], v[84:85]
	v_add_f64 v[92:93], v[42:43], v[90:91]
	v_add_f64 v[42:43], v[42:43], -v[90:91]
	ds_write2_b64 v144, v[210:211], v[212:213] offset0:60 offset1:90
	ds_write2_b64 v144, v[148:149], v[138:139] offset0:120 offset1:150
	;; [unrolled: 1-line block ×4, first 2 shown]
	v_fma_f64 v[58:59], v[70:71], s[14:15], v[74:75]
	v_fma_f64 v[74:75], v[76:77], s[0:1], v[88:89]
	v_add_f64 v[88:89], v[26:27], v[24:25]
	v_add_f64 v[94:95], v[30:31], v[50:51]
	;; [unrolled: 1-line block ×3, first 2 shown]
	v_add_f64 v[26:27], v[26:27], -v[30:31]
	v_mul_f64 v[76:77], v[130:131], s[14:15]
	v_add_f64 v[130:131], v[28:29], -v[20:21]
	v_add_f64 v[50:51], v[86:87], v[50:51]
	v_mul_f64 v[86:87], v[146:147], s[22:23]
	v_lshl_add_u32 v138, v162, 3, 0
	v_lshl_add_u32 v141, v166, 3, 0
	;; [unrolled: 1-line block ×4, first 2 shown]
	s_waitcnt lgkmcnt(0)
	s_barrier
	buffer_gl0_inv
	ds_read_b64 v[70:71], v171
	ds_read_b64 v[66:67], v172
	;; [unrolled: 1-line block ×9, first 2 shown]
	v_fma_f64 v[116:117], v[38:39], s[0:1], v[58:59]
	ds_read_b64 v[58:59], v141
	v_fma_f64 v[88:89], v[88:89], -0.5, v[106:107]
	v_fma_f64 v[32:33], v[94:95], -0.5, v[106:107]
	;; [unrolled: 1-line block ×4, first 2 shown]
	v_fma_f64 v[94:95], v[112:113], s[0:1], v[108:109]
	v_add_f64 v[148:149], v[0:1], -v[8:9]
	v_add_f64 v[108:109], v[56:57], v[72:73]
	v_add_f64 v[56:57], v[56:57], -v[72:73]
	v_add_f64 v[72:73], v[20:21], -v[28:29]
	;; [unrolled: 1-line block ×3, first 2 shown]
	v_fma_f64 v[76:77], v[128:129], s[22:23], v[76:77]
	v_add_f64 v[128:129], v[16:17], v[8:9]
	v_fma_f64 v[86:87], v[150:151], s[14:15], -v[86:87]
	v_add_f64 v[82:83], v[50:51], v[4:5]
	v_add_f64 v[50:51], v[50:51], -v[4:5]
	ds_read2_b64 v[36:39], v183 offset0:132 offset1:222
	ds_read2_b64 v[28:31], v174 offset0:56 offset1:146
	;; [unrolled: 1-line block ×4, first 2 shown]
	v_fma_f64 v[112:113], v[154:155], s[16:17], v[88:89]
	v_fma_f64 v[88:89], v[154:155], s[20:21], v[88:89]
	v_fma_f64 v[118:119], v[52:53], s[20:21], v[32:33]
	v_fma_f64 v[124:125], v[52:53], s[16:17], v[32:33]
	v_fma_f64 v[12:13], v[14:15], s[16:17], v[106:107]
	v_fma_f64 v[156:157], v[46:47], s[20:21], v[104:105]
	v_fma_f64 v[104:105], v[46:47], s[16:17], v[104:105]
	ds_read2_b64 v[32:35], v178 offset0:8 offset1:98
	v_add_f64 v[72:73], v[72:73], v[152:153]
	v_add_f64 v[152:153], v[158:159], v[10:11]
	;; [unrolled: 1-line block ×3, first 2 shown]
	ds_read2_b64 v[8:11], v185 offset0:160 offset1:250
	v_fma_f64 v[112:113], v[52:53], s[14:15], v[112:113]
	v_fma_f64 v[52:53], v[52:53], s[18:19], v[88:89]
	;; [unrolled: 1-line block ×3, first 2 shown]
	v_add_f64 v[106:107], v[26:27], v[114:115]
	v_fma_f64 v[114:115], v[154:155], s[14:15], v[118:119]
	v_fma_f64 v[118:119], v[154:155], s[18:19], v[124:125]
	v_add_f64 v[124:125], v[130:131], v[148:149]
	v_mul_f64 v[130:131], v[132:133], s[22:23]
	v_fma_f64 v[132:133], v[46:47], s[14:15], v[12:13]
	v_fma_f64 v[148:149], v[14:15], s[14:15], v[156:157]
	v_fma_f64 v[104:105], v[14:15], s[18:19], v[104:105]
	v_add_f64 v[2:3], v[152:153], v[2:3]
	ds_read2_b64 v[24:27], v184 offset0:60 offset1:150
	ds_read2_b64 v[12:15], v182 offset0:36 offset1:126
	v_fma_f64 v[46:47], v[46:47], s[18:19], v[88:89]
	v_fma_f64 v[88:89], v[40:41], s[0:1], v[112:113]
	;; [unrolled: 1-line block ×5, first 2 shown]
	v_fma_f64 v[110:111], v[110:111], s[14:15], -v[130:131]
	v_fma_f64 v[118:119], v[124:125], s[0:1], v[132:133]
	v_fma_f64 v[126:127], v[72:73], s[0:1], v[148:149]
	;; [unrolled: 1-line block ×4, first 2 shown]
	v_add_f64 v[52:53], v[74:75], v[6:7]
	v_add_f64 v[114:115], v[116:117], v[94:95]
	v_add_f64 v[74:75], v[74:75], -v[6:7]
	v_add_f64 v[94:95], v[116:117], -v[94:95]
	v_fma_f64 v[46:47], v[124:125], s[0:1], v[46:47]
	v_add_f64 v[90:91], v[88:89], v[76:77]
	v_add_f64 v[76:77], v[88:89], -v[76:77]
	v_add_f64 v[88:89], v[112:113], v[98:99]
	v_add_f64 v[102:103], v[106:107], v[96:97]
	v_add_f64 v[96:97], v[106:107], -v[96:97]
	v_add_f64 v[106:107], v[40:41], v[110:111]
	v_add_f64 v[98:99], v[112:113], -v[98:99]
	v_add_f64 v[40:41], v[40:41], -v[110:111]
	v_add_f64 v[110:111], v[0:1], v[2:3]
	v_add_f64 v[116:117], v[118:119], v[104:105]
	;; [unrolled: 1-line block ×4, first 2 shown]
	v_add_f64 v[112:113], v[0:1], -v[2:3]
	ds_read2_b64 v[4:7], v180 offset0:84 offset1:174
	ds_read2_b64 v[0:3], v186 offset0:88 offset1:178
	s_waitcnt lgkmcnt(0)
	s_barrier
	buffer_gl0_inv
	ds_write2_b64 v193, v[108:109], v[52:53] offset1:30
	ds_write2_b64 v193, v[114:115], v[100:101] offset0:60 offset1:90
	ds_write2_b64 v193, v[92:93], v[56:57] offset0:120 offset1:150
	;; [unrolled: 1-line block ×4, first 2 shown]
	ds_write2_b64 v143, v[82:83], v[90:91] offset1:30
	ds_write2_b64 v143, v[88:89], v[102:103] offset0:60 offset1:90
	ds_write2_b64 v143, v[106:107], v[50:51] offset0:120 offset1:150
	;; [unrolled: 1-line block ×4, first 2 shown]
	ds_write2_b64 v144, v[110:111], v[116:117] offset1:30
	ds_write2_b64 v144, v[124:125], v[128:129] offset0:60 offset1:90
	v_lshlrev_b32_e32 v56, 1, v160
	v_mov_b32_e32 v57, 0
	v_add_f64 v[104:105], v[118:119], -v[104:105]
	v_add_f64 v[118:119], v[46:47], v[86:87]
	v_add_f64 v[84:85], v[126:127], -v[84:85]
	v_add_f64 v[72:73], v[72:73], -v[80:81]
	;; [unrolled: 1-line block ×3, first 2 shown]
	v_lshlrev_b64 v[40:41], 4, v[56:57]
	v_lshlrev_b32_e32 v42, 1, v187
	v_mov_b32_e32 v43, v57
	ds_write2_b64 v144, v[118:119], v[112:113] offset0:120 offset1:150
	ds_write2_b64 v144, v[104:105], v[84:85] offset0:180 offset1:210
	;; [unrolled: 1-line block ×3, first 2 shown]
	v_add_co_u32 v128, s0, s12, v40
	v_add_co_ci_u32_e64 v129, s0, s13, v41, s0
	v_lshlrev_b64 v[40:41], 4, v[42:43]
	v_add_co_u32 v42, s0, 0x1000, v128
	v_add_co_ci_u32_e64 v43, s0, 0, v129, s0
	s_waitcnt lgkmcnt(0)
	v_add_co_u32 v130, s0, s12, v40
	v_add_co_ci_u32_e64 v131, s0, s13, v41, s0
	s_barrier
	v_add_co_u32 v46, s0, 0x1000, v130
	v_add_co_ci_u32_e64 v47, s0, 0, v131, s0
	v_add_co_u32 v72, s0, 0x1290, v128
	buffer_gl0_inv
	global_load_dwordx4 v[40:43], v[42:43], off offset:656
	v_add_co_ci_u32_e64 v73, s0, 0, v129, s0
	s_clause 0x1
	global_load_dwordx4 v[50:53], v[46:47], off offset:656
	global_load_dwordx4 v[72:75], v[72:73], off offset:16
	v_add_co_u32 v46, s0, 0x1290, v130
	v_add_co_ci_u32_e64 v47, s0, 0, v131, s0
	v_lshlrev_b32_e32 v80, 1, v188
	v_mov_b32_e32 v81, v57
	v_subrev_nc_u32_e32 v82, 30, v160
	global_load_dwordx4 v[76:79], v[46:47], off offset:16
	v_cmp_gt_u32_e64 s0, 30, v160
	ds_read2_b64 v[100:103], v183 offset0:132 offset1:222
	v_lshlrev_b64 v[46:47], 4, v[80:81]
	ds_read2_b64 v[104:107], v178 offset0:8 offset1:98
	ds_read2_b64 v[112:115], v174 offset0:56 offset1:146
	v_cndmask_b32_e64 v134, v82, v161, s0
	v_add_nc_u32_e32 v187, 0x1c00, v171
	v_add_co_u32 v132, s0, s12, v46
	v_add_co_ci_u32_e64 v133, s0, s13, v47, s0
	v_lshlrev_b32_e32 v46, 1, v134
	v_add_co_u32 v80, s0, 0x1000, v132
	v_mov_b32_e32 v47, v57
	v_add_co_ci_u32_e64 v81, s0, 0, v133, s0
	v_lshlrev_b64 v[46:47], 4, v[46:47]
	global_load_dwordx4 v[80:83], v[80:81], off offset:656
	v_add_co_u32 v92, s0, s12, v46
	v_add_co_ci_u32_e64 v93, s0, s13, v47, s0
	v_add_co_u32 v46, s0, 0x1000, v92
	v_add_co_ci_u32_e64 v47, s0, 0, v93, s0
	global_load_dwordx4 v[84:87], v[46:47], off offset:656
	v_add_co_u32 v46, s0, 0x1290, v132
	v_add_co_ci_u32_e64 v47, s0, 0, v133, s0
	global_load_dwordx4 v[88:91], v[46:47], off offset:16
	;; [unrolled: 3-line block ×3, first 2 shown]
	v_add_nc_u32_e32 v46, 0x78, v56
	v_mov_b32_e32 v47, v57
	v_add_nc_u32_e32 v56, 0x12c, v56
	v_lshlrev_b64 v[46:47], 4, v[46:47]
	v_add_co_u32 v126, s0, s12, v46
	v_add_co_ci_u32_e64 v127, s0, s13, v47, s0
	v_add_co_u32 v46, s0, 0x1000, v126
	v_add_co_ci_u32_e64 v47, s0, 0, v127, s0
	global_load_dwordx4 v[96:99], v[46:47], off offset:656
	v_lshlrev_b64 v[46:47], 4, v[56:57]
	v_add_co_u32 v135, s0, s12, v46
	v_add_co_ci_u32_e64 v136, s0, s13, v47, s0
	v_add_co_u32 v46, s0, 0x1000, v135
	v_add_co_ci_u32_e64 v47, s0, 0, v136, s0
	global_load_dwordx4 v[108:111], v[46:47], off offset:656
	s_waitcnt vmcnt(9) lgkmcnt(2)
	v_mul_f64 v[46:47], v[100:101], v[42:43]
	v_mul_f64 v[42:43], v[36:37], v[42:43]
	s_waitcnt vmcnt(8)
	v_mul_f64 v[116:117], v[102:103], v[52:53]
	s_waitcnt vmcnt(7) lgkmcnt(1)
	v_mul_f64 v[118:119], v[104:105], v[74:75]
	v_mul_f64 v[52:53], v[38:39], v[52:53]
	;; [unrolled: 1-line block ×3, first 2 shown]
	s_waitcnt vmcnt(6)
	v_mul_f64 v[124:125], v[106:107], v[78:79]
	v_fma_f64 v[36:37], v[36:37], v[40:41], -v[46:47]
	v_fma_f64 v[40:41], v[100:101], v[40:41], v[42:43]
	v_lshrrev_b16 v42, 2, v164
	v_mov_b32_e32 v100, 0x6d3b
	v_add_co_u32 v46, s0, 0x1290, v126
	v_add_co_ci_u32_e64 v47, s0, 0, v127, s0
	v_mul_u32_u24_sdwa v56, v42, v100 dst_sel:DWORD dst_unused:UNUSED_PAD src0_sel:WORD_0 src1_sel:DWORD
	v_lshrrev_b16 v101, 2, v165
	v_fma_f64 v[38:39], v[38:39], v[50:51], -v[116:117]
	v_fma_f64 v[32:33], v[32:33], v[72:73], -v[118:119]
	global_load_dwordx4 v[116:119], v[46:47], off offset:16
	v_lshrrev_b32_e32 v56, 21, v56
	v_fma_f64 v[42:43], v[102:103], v[50:51], v[52:53]
	v_mul_f64 v[52:53], v[34:35], v[78:79]
	v_fma_f64 v[50:51], v[34:35], v[76:77], -v[124:125]
	v_mul_u32_u24_sdwa v35, v101, v100 dst_sel:DWORD dst_unused:UNUSED_PAD src0_sel:WORD_0 src1_sel:DWORD
	v_fma_f64 v[46:47], v[104:105], v[72:73], v[74:75]
	v_mul_lo_u16 v74, 0x12c, v56
	v_add_co_u32 v34, s0, 0x1290, v135
	v_lshrrev_b32_e32 v75, 21, v35
	v_mov_b32_e32 v78, 5
	v_sub_nc_u16 v135, v164, v74
	v_add_co_ci_u32_e64 v35, s0, 0, v136, s0
	v_mul_lo_u16 v101, 0x12c, v75
	ds_read2_b64 v[124:127], v184 offset0:60 offset1:150
	global_load_dwordx4 v[102:105], v[34:35], off offset:16
	s_waitcnt vmcnt(7) lgkmcnt(1)
	v_mul_f64 v[72:73], v[112:113], v[82:83]
	v_mul_f64 v[74:75], v[28:29], v[82:83]
	v_lshlrev_b32_sdwa v82, v78, v135 dst_sel:DWORD dst_unused:UNUSED_PAD src0_sel:DWORD src1_sel:WORD_0
	v_sub_nc_u16 v34, v165, v101
	s_waitcnt vmcnt(6)
	v_mul_f64 v[78:79], v[114:115], v[86:87]
	v_mul_f64 v[86:87], v[30:31], v[86:87]
	v_add_co_u32 v101, s0, s12, v82
	v_add_co_ci_u32_e64 v137, null, s13, 0, s0
	v_and_b32_e32 v136, 0xffff, v34
	v_add_co_u32 v82, s0, 0x1000, v101
	v_add_co_ci_u32_e64 v83, s0, 0, v137, s0
	v_lshlrev_b32_e32 v142, 5, v136
	v_fma_f64 v[34:35], v[106:107], v[76:77], v[52:53]
	v_lshrrev_b16 v76, 2, v166
	global_load_dwordx4 v[143:146], v[82:83], off offset:656
	v_lshrrev_b16 v77, 2, v169
	v_add_co_u32 v82, s0, s12, v142
	v_add_co_ci_u32_e64 v83, null, s13, 0, s0
	v_mul_u32_u24_sdwa v76, v76, v100 dst_sel:DWORD dst_unused:UNUSED_PAD src0_sel:WORD_0 src1_sel:DWORD
	v_add_co_u32 v52, s0, 0x1000, v82
	v_add_co_ci_u32_e64 v53, s0, 0, v83, s0
	v_fma_f64 v[30:31], v[30:31], v[84:85], -v[78:79]
	v_fma_f64 v[28:29], v[28:29], v[80:81], -v[72:73]
	v_fma_f64 v[74:75], v[112:113], v[80:81], v[74:75]
	global_load_dwordx4 v[147:150], v[52:53], off offset:656
	v_lshrrev_b32_e32 v52, 21, v76
	v_mul_u32_u24_sdwa v53, v77, v100 dst_sel:DWORD dst_unused:UNUSED_PAD src0_sel:WORD_0 src1_sel:DWORD
	v_add_co_u32 v76, s0, 0x1290, v101
	v_fma_f64 v[72:73], v[114:115], v[84:85], v[86:87]
	v_mul_lo_u16 v77, 0x12c, v52
	v_lshrrev_b32_e32 v78, 21, v53
	s_waitcnt vmcnt(7) lgkmcnt(0)
	v_mul_f64 v[52:53], v[124:125], v[90:91]
	v_lshl_add_u32 v188, v136, 3, 0
	v_sub_nc_u16 v79, v166, v77
	v_add_co_ci_u32_e64 v77, s0, 0, v137, s0
	v_mul_lo_u16 v80, 0x12c, v78
	v_add_co_u32 v78, s0, 0x1290, v82
	v_and_b32_e32 v137, 0xffff, v79
	v_add_co_ci_u32_e64 v79, s0, 0, v83, s0
	global_load_dwordx4 v[112:115], v[76:77], off offset:16
	v_sub_nc_u16 v80, v169, v80
	global_load_dwordx4 v[151:154], v[78:79], off offset:16
	v_lshlrev_b32_e32 v76, 5, v137
	v_and_b32_e32 v142, 0xffff, v80
	v_mul_f64 v[80:81], v[24:25], v[90:91]
	v_add_co_u32 v84, s0, s12, v76
	v_add_co_ci_u32_e64 v85, null, s13, 0, s0
	v_lshlrev_b32_e32 v76, 5, v142
	v_add_co_u32 v78, s0, 0x1000, v84
	v_add_co_ci_u32_e64 v79, s0, 0, v85, s0
	v_add_co_u32 v86, s1, s12, v76
	v_add_co_ci_u32_e64 v87, null, s13, 0, s1
	global_load_dwordx4 v[155:158], v[78:79], off offset:656
	v_add_co_u32 v82, s0, 0x1000, v86
	v_add_co_ci_u32_e64 v83, s0, 0, v87, s0
	v_fma_f64 v[76:77], v[24:25], v[88:89], -v[52:53]
	s_waitcnt vmcnt(9)
	v_mul_f64 v[52:53], v[126:127], v[94:95]
	v_fma_f64 v[24:25], v[124:125], v[88:89], v[80:81]
	global_load_dwordx4 v[193:196], v[82:83], off offset:656
	v_add_co_u32 v78, s0, 0x1290, v84
	v_add_co_ci_u32_e64 v79, s0, 0, v85, s0
	v_add_co_u32 v80, s0, 0x1290, v86
	v_add_co_ci_u32_e64 v81, s0, 0, v87, s0
	global_load_dwordx4 v[197:200], v[78:79], off offset:16
	s_waitcnt vmcnt(10)
	v_mul_f64 v[84:85], v[20:21], v[98:99]
	v_cmp_lt_u32_e64 s0, 29, v160
	global_load_dwordx4 v[201:204], v[80:81], off offset:16
	ds_read2_b64 v[80:83], v179 offset0:108 offset1:198
	v_lshl_add_u32 v142, v142, 3, 0
	v_fma_f64 v[100:101], v[26:27], v[92:93], -v[52:53]
	v_mul_f64 v[26:27], v[26:27], v[94:95]
	s_waitcnt lgkmcnt(0)
	v_mul_f64 v[52:53], v[80:81], v[98:99]
	v_fma_f64 v[80:81], v[80:81], v[96:97], v[84:85]
	ds_read2_b64 v[84:87], v181 offset0:112 offset1:202
	v_add_f64 v[124:125], v[30:31], v[100:101]
	v_fma_f64 v[26:27], v[126:127], v[92:93], v[26:27]
	ds_read2_b64 v[90:93], v185 offset0:160 offset1:250
	v_fma_f64 v[78:79], v[20:21], v[96:97], -v[52:53]
	s_waitcnt vmcnt(10)
	v_mul_f64 v[20:21], v[82:83], v[110:111]
	v_mul_f64 v[52:53], v[22:23], v[110:111]
	ds_read2_b64 v[96:99], v182 offset0:36 offset1:126
	v_fma_f64 v[124:125], v[124:125], -0.5, v[64:65]
	v_add_f64 v[64:65], v[64:65], v[30:31]
	v_add_f64 v[30:31], v[30:31], -v[100:101]
	v_fma_f64 v[20:21], v[22:23], v[108:109], -v[20:21]
	v_fma_f64 v[22:23], v[82:83], v[108:109], v[52:53]
	v_add_f64 v[64:65], v[64:65], v[100:101]
	s_waitcnt vmcnt(9) lgkmcnt(2)
	v_mul_f64 v[52:53], v[84:85], v[118:119]
	v_mul_f64 v[82:83], v[16:17], v[118:119]
	v_add_f64 v[118:119], v[28:29], v[76:77]
	s_waitcnt vmcnt(8)
	v_mul_f64 v[88:89], v[86:87], v[104:105]
	v_fma_f64 v[16:17], v[16:17], v[116:117], -v[52:53]
	v_fma_f64 v[52:53], v[84:85], v[116:117], v[82:83]
	v_mul_f64 v[82:83], v[18:19], v[104:105]
	v_add_f64 v[116:117], v[38:39], v[50:51]
	v_fma_f64 v[118:119], v[118:119], -0.5, v[68:69]
	s_waitcnt vmcnt(7) lgkmcnt(1)
	v_mul_f64 v[84:85], v[90:91], v[145:146]
	v_fma_f64 v[18:19], v[18:19], v[102:103], -v[88:89]
	v_mul_f64 v[88:89], v[8:9], v[145:146]
	v_fma_f64 v[82:83], v[86:87], v[102:103], v[82:83]
	v_fma_f64 v[145:146], v[116:117], -0.5, v[66:67]
	s_waitcnt vmcnt(6)
	v_mul_f64 v[94:95], v[92:93], v[149:150]
	v_mul_f64 v[102:103], v[10:11], v[149:150]
	v_add_f64 v[149:150], v[74:75], -v[24:25]
	v_fma_f64 v[86:87], v[8:9], v[143:144], -v[84:85]
	v_fma_f64 v[88:89], v[90:91], v[143:144], v[88:89]
	v_add_f64 v[143:144], v[40:41], -v[46:47]
	s_waitcnt vmcnt(5) lgkmcnt(0)
	v_mul_f64 v[84:85], v[96:97], v[114:115]
	v_mul_f64 v[104:105], v[12:13], v[114:115]
	v_fma_f64 v[90:91], v[10:11], v[147:148], -v[94:95]
	ds_read2_b64 v[8:11], v180 offset0:84 offset1:174
	v_fma_f64 v[92:93], v[92:93], v[147:148], v[102:103]
	s_waitcnt vmcnt(4)
	v_mul_f64 v[102:103], v[98:99], v[153:154]
	v_mul_f64 v[106:107], v[14:15], v[153:154]
	v_add_f64 v[114:115], v[36:37], v[32:33]
	v_add_f64 v[147:148], v[42:43], -v[34:35]
	v_fma_f64 v[94:95], v[12:13], v[112:113], -v[84:85]
	v_fma_f64 v[84:85], v[96:97], v[112:113], v[104:105]
	s_waitcnt vmcnt(3) lgkmcnt(0)
	v_mul_f64 v[104:105], v[8:9], v[157:158]
	v_mul_f64 v[108:109], v[4:5], v[157:158]
	v_fma_f64 v[96:97], v[14:15], v[151:152], -v[102:103]
	ds_read2_b64 v[12:15], v186 offset0:88 offset1:178
	v_fma_f64 v[98:99], v[98:99], v[151:152], v[106:107]
	s_waitcnt vmcnt(2)
	v_mul_f64 v[110:111], v[10:11], v[195:196]
	v_mul_f64 v[112:113], v[6:7], v[195:196]
	v_fma_f64 v[126:127], v[114:115], -0.5, v[70:71]
	v_add_f64 v[70:71], v[70:71], v[36:37]
	v_add_f64 v[151:152], v[72:73], -v[26:27]
	v_fma_f64 v[106:107], v[4:5], v[155:156], -v[104:105]
	v_fma_f64 v[108:109], v[8:9], v[155:156], v[108:109]
	s_waitcnt vmcnt(1) lgkmcnt(0)
	v_mul_f64 v[4:5], v[12:13], v[199:200]
	s_waitcnt vmcnt(0)
	v_mul_f64 v[8:9], v[14:15], v[203:204]
	v_fma_f64 v[102:103], v[6:7], v[193:194], -v[110:111]
	v_fma_f64 v[104:105], v[10:11], v[193:194], v[112:113]
	v_mul_f64 v[6:7], v[0:1], v[199:200]
	v_mul_f64 v[10:11], v[2:3], v[203:204]
	v_fma_f64 v[116:117], v[0:1], v[197:198], -v[4:5]
	v_add_f64 v[0:1], v[70:71], v[32:33]
	v_fma_f64 v[114:115], v[2:3], v[201:202], -v[8:9]
	v_fma_f64 v[2:3], v[143:144], s[4:5], v[126:127]
	v_fma_f64 v[4:5], v[143:144], s[6:7], v[126:127]
	;; [unrolled: 1-line block ×10, first 2 shown]
	ds_read_b64 v[143:144], v171
	ds_read_b64 v[145:146], v172
	;; [unrolled: 1-line block ×10, first 2 shown]
	s_waitcnt lgkmcnt(0)
	s_barrier
	buffer_gl0_inv
	ds_write_b64 v171, v[0:1]
	ds_write_b64 v171, v[2:3] offset:2400
	v_add_f64 v[0:1], v[66:67], v[38:39]
	v_add_f64 v[2:3], v[68:69], v[28:29]
	ds_write_b64 v171, v[4:5] offset:4800
	v_add_f64 v[4:5], v[78:79], v[16:17]
	ds_write_b64 v172, v[8:9] offset:4800
	ds_write_b64 v172, v[6:7] offset:2400
	v_add_f64 v[6:7], v[62:63], v[78:79]
	v_add_f64 v[8:9], v[60:61], v[20:21]
	v_lshlrev_b32_e32 v66, 3, v134
	v_add_f64 v[32:33], v[36:37], -v[32:33]
	v_add_f64 v[36:37], v[145:146], v[42:43]
	v_add_f64 v[38:39], v[38:39], -v[50:51]
	v_add_f64 v[28:29], v[28:29], -v[76:77]
	;; [unrolled: 1-line block ×3, first 2 shown]
	v_add_f64 v[0:1], v[0:1], v[50:51]
	v_add_f64 v[2:3], v[2:3], v[76:77]
	v_add_f64 v[50:51], v[88:89], -v[84:85]
	v_fma_f64 v[4:5], v[4:5], -0.5, v[62:63]
	v_add_f64 v[62:63], v[80:81], -v[52:53]
	ds_write_b64 v172, v[0:1]
	v_add_f64 v[0:1], v[20:21], v[18:19]
	ds_write_b64 v173, v[2:3]
	v_add_f64 v[2:3], v[6:7], v[16:17]
	v_add_f64 v[6:7], v[8:9], v[18:19]
	v_fma_f64 v[8:9], v[62:63], s[4:5], v[4:5]
	v_fma_f64 v[4:5], v[62:63], s[6:7], v[4:5]
	ds_write_b64 v173, v[10:11] offset:2400
	v_add_f64 v[10:11], v[42:43], v[34:35]
	v_add_f64 v[42:43], v[54:55], v[86:87]
	v_fma_f64 v[0:1], v[0:1], -0.5, v[60:61]
	v_add_f64 v[60:61], v[22:23], -v[82:83]
	v_fma_f64 v[10:11], v[10:11], -0.5, v[145:146]
	v_add_f64 v[145:146], v[36:37], v[34:35]
	v_fma_f64 v[62:63], v[60:61], s[4:5], v[0:1]
	v_fma_f64 v[0:1], v[60:61], s[6:7], v[0:1]
	v_cndmask_b32_e64 v60, 0, 0x1c20, s0
	v_add3_u32 v159, 0, v60, v66
	v_add_f64 v[60:61], v[40:41], v[46:47]
	ds_write_b64 v173, v[12:13] offset:4800
	ds_write_b64 v159, v[64:65]
	ds_write_b64 v159, v[14:15] offset:2400
	v_add_f64 v[14:15], v[90:91], v[96:97]
	v_add_f64 v[12:13], v[86:87], v[94:95]
	;; [unrolled: 1-line block ×3, first 2 shown]
	ds_write_b64 v159, v[70:71] offset:4800
	ds_write2_b64 v187, v[2:3], v[6:7] offset0:64 offset1:154
	v_add_f64 v[2:3], v[102:103], v[114:115]
	ds_write2_b64 v179, v[8:9], v[62:63] offset0:108 offset1:198
	ds_write2_b64 v180, v[4:5], v[0:1] offset0:24 offset1:114
	v_add_f64 v[0:1], v[143:144], v[40:41]
	v_add_f64 v[6:7], v[74:75], v[24:25]
	;; [unrolled: 1-line block ×3, first 2 shown]
	v_add_f64 v[62:63], v[108:109], -v[112:113]
	v_add_f64 v[40:41], v[147:148], v[74:75]
	v_add_f64 v[66:67], v[153:154], v[72:73]
	v_add_f64 v[86:87], v[86:87], -v[94:95]
	v_fma_f64 v[8:9], v[60:61], -0.5, v[143:144]
	v_fma_f64 v[14:15], v[14:15], -0.5, v[48:49]
	v_add_f64 v[48:49], v[48:49], v[90:91]
	v_fma_f64 v[12:13], v[12:13], -0.5, v[54:55]
	v_add_f64 v[54:55], v[92:93], -v[98:99]
	v_fma_f64 v[60:61], v[64:65], -0.5, v[58:59]
	v_add_f64 v[58:59], v[58:59], v[106:107]
	v_fma_f64 v[2:3], v[2:3], -0.5, v[44:45]
	v_add_f64 v[44:45], v[44:45], v[102:103]
	v_add_f64 v[64:65], v[104:105], -v[110:111]
	v_add_f64 v[90:91], v[90:91], -v[96:97]
	v_add_f64 v[46:47], v[0:1], v[46:47]
	v_add_f64 v[0:1], v[42:43], v[94:95]
	v_fma_f64 v[6:7], v[6:7], -0.5, v[147:148]
	v_fma_f64 v[4:5], v[4:5], -0.5, v[153:154]
	v_fma_f64 v[147:148], v[38:39], s[6:7], v[10:11]
	v_fma_f64 v[153:154], v[38:39], s[4:5], v[10:11]
	v_add_f64 v[106:107], v[106:107], -v[116:117]
	v_fma_f64 v[100:101], v[32:33], s[6:7], v[8:9]
	v_fma_f64 v[143:144], v[32:33], s[4:5], v[8:9]
	v_add_f64 v[102:103], v[102:103], -v[114:115]
	v_add_f64 v[40:41], v[40:41], v[24:25]
	v_add_f64 v[32:33], v[48:49], v[96:97]
	v_fma_f64 v[8:9], v[50:51], s[4:5], v[12:13]
	v_fma_f64 v[10:11], v[50:51], s[6:7], v[12:13]
	;; [unrolled: 1-line block ×4, first 2 shown]
	v_add_f64 v[38:39], v[58:59], v[116:117]
	v_fma_f64 v[34:35], v[62:63], s[4:5], v[60:61]
	v_fma_f64 v[36:37], v[62:63], s[6:7], v[60:61]
	v_add_f64 v[44:45], v[44:45], v[114:115]
	v_fma_f64 v[42:43], v[64:65], s[4:5], v[2:3]
	v_fma_f64 v[2:3], v[64:65], s[6:7], v[2:3]
	v_lshlrev_b32_sdwa v54, v192, v135 dst_sel:DWORD dst_unused:UNUSED_PAD src0_sel:DWORD src1_sel:WORD_0
	v_mul_u32_u24_e32 v55, 0x1c20, v56
	v_lshl_add_u32 v192, v137, 3, 0
	v_add_f64 v[136:137], v[151:152], v[22:23]
	v_add_f64 v[96:97], v[124:125], v[108:109]
	v_fma_f64 v[48:49], v[28:29], s[6:7], v[6:7]
	v_add3_u32 v56, 0, v55, v54
	ds_write_b64 v56, v[0:1]
	ds_write_b64 v56, v[8:9] offset:2400
	ds_write_b64 v56, v[10:11] offset:4800
	;; [unrolled: 1-line block ×4, first 2 shown]
	v_add_f64 v[12:13], v[80:81], v[52:53]
	v_add_f64 v[32:33], v[22:23], v[82:83]
	ds_write_b64 v188, v[14:15] offset:19200
	ds_write_b64 v192, v[38:39] offset:14400
	ds_write_b64 v192, v[34:35] offset:16800
	ds_write_b64 v192, v[36:37] offset:19200
	ds_write_b64 v142, v[44:45] offset:14400
	ds_write_b64 v142, v[42:43] offset:16800
	ds_write_b64 v142, v[2:3] offset:19200
	v_add_f64 v[34:35], v[88:89], v[84:85]
	v_add_f64 v[36:37], v[92:93], v[98:99]
	;; [unrolled: 1-line block ×8, first 2 shown]
	v_fma_f64 v[50:51], v[28:29], s[4:5], v[6:7]
	v_add_f64 v[54:55], v[66:67], v[26:27]
	v_fma_f64 v[134:135], v[30:31], s[6:7], v[4:5]
	v_fma_f64 v[157:158], v[30:31], s[4:5], v[4:5]
	s_waitcnt lgkmcnt(0)
	s_barrier
	buffer_gl0_inv
	ds_read_b64 v[58:59], v191
	ds_read_b64 v[60:61], v189
	ds_read_b64 v[68:69], v190
	ds_read_b64 v[72:73], v171
	ds_read_b64 v[74:75], v172
	ds_read_b64 v[76:77], v173
	ds_read_b64 v[62:63], v138
	ds_read_b64 v[64:65], v139
	ds_read_b64 v[66:67], v140
	ds_read_b64 v[70:71], v141
	ds_read2_b64 v[24:27], v183 offset0:132 offset1:222
	ds_read2_b64 v[28:31], v178 offset0:8 offset1:98
	v_fma_f64 v[44:45], v[12:13], -0.5, v[149:150]
	v_fma_f64 v[149:150], v[32:33], -0.5, v[151:152]
	v_add_f64 v[151:152], v[20:21], -v[18:19]
	v_fma_f64 v[155:156], v[34:35], -0.5, v[155:156]
	v_fma_f64 v[94:95], v[36:37], -0.5, v[126:127]
	;; [unrolled: 1-line block ×3, first 2 shown]
	ds_read2_b64 v[0:3], v174 offset0:56 offset1:146
	ds_read2_b64 v[4:7], v184 offset0:60 offset1:150
	;; [unrolled: 1-line block ×3, first 2 shown]
	v_fma_f64 v[80:81], v[80:81], -0.5, v[118:119]
	ds_read2_b64 v[12:15], v181 offset0:112 offset1:202
	ds_read2_b64 v[16:19], v185 offset0:160 offset1:250
	;; [unrolled: 1-line block ×5, first 2 shown]
	v_add_f64 v[42:43], v[42:43], v[52:53]
	v_add_f64 v[52:53], v[136:137], v[82:83]
	s_waitcnt lgkmcnt(0)
	s_barrier
	buffer_gl0_inv
	ds_write_b64 v171, v[46:47]
	ds_write_b64 v171, v[100:101] offset:2400
	ds_write_b64 v171, v[143:144] offset:4800
	ds_write_b64 v172, v[145:146]
	ds_write_b64 v172, v[147:148] offset:2400
	v_add_f64 v[84:85], v[88:89], v[84:85]
	v_add_f64 v[92:93], v[92:93], v[98:99]
	;; [unrolled: 1-line block ×3, first 2 shown]
	v_fma_f64 v[46:47], v[78:79], s[6:7], v[44:45]
	v_fma_f64 v[44:45], v[78:79], s[4:5], v[44:45]
	;; [unrolled: 1-line block ×8, first 2 shown]
	v_add_f64 v[94:95], v[96:97], v[112:113]
	v_fma_f64 v[96:97], v[106:107], s[6:7], v[108:109]
	v_fma_f64 v[100:101], v[106:107], s[4:5], v[108:109]
	;; [unrolled: 1-line block ×4, first 2 shown]
	ds_write_b64 v172, v[153:154] offset:4800
	ds_write_b64 v173, v[40:41]
	ds_write_b64 v173, v[48:49] offset:2400
	ds_write_b64 v173, v[50:51] offset:4800
	ds_write_b64 v159, v[54:55]
	ds_write_b64 v159, v[134:135] offset:2400
	ds_write_b64 v159, v[157:158] offset:4800
	ds_write2_b64 v187, v[42:43], v[52:53] offset0:64 offset1:154
	ds_write2_b64 v179, v[46:47], v[78:79] offset0:108 offset1:198
	;; [unrolled: 1-line block ×3, first 2 shown]
	ds_write_b64 v56, v[84:85]
	ds_write_b64 v56, v[88:89] offset:2400
	ds_write_b64 v56, v[86:87] offset:4800
	;; [unrolled: 1-line block ×11, first 2 shown]
	s_waitcnt lgkmcnt(0)
	s_barrier
	buffer_gl0_inv
	s_and_saveexec_b32 s0, vcc_lo
	s_cbranch_execz .LBB0_15
; %bb.14:
	v_lshlrev_b32_e32 v56, 1, v169
	v_sub_nc_u32_e32 v169, 0, v175
	v_sub_nc_u32_e32 v209, 0, v176
	v_sub_nc_u32_e32 v210, 0, v177
	v_mul_lo_u32 v211, s9, v122
	v_lshlrev_b64 v[40:41], 4, v[56:57]
	v_lshlrev_b32_e32 v56, 1, v166
	v_mul_lo_u32 v212, s8, v123
	v_add_nc_u32_e32 v213, 0x5a, v160
	v_add_nc_u32_e32 v170, v170, v210
	;; [unrolled: 1-line block ×3, first 2 shown]
	v_add_co_u32 v42, vcc_lo, s12, v40
	v_add_co_ci_u32_e32 v43, vcc_lo, s13, v41, vcc_lo
	v_lshlrev_b64 v[40:41], 4, v[56:57]
	v_add_co_u32 v44, vcc_lo, 0x3810, v42
	v_add_co_ci_u32_e32 v45, vcc_lo, 0, v43, vcc_lo
	v_add_co_u32 v42, vcc_lo, 0x3800, v42
	v_add_co_ci_u32_e32 v43, vcc_lo, 0, v43, vcc_lo
	v_add_co_u32 v50, vcc_lo, s12, v40
	v_lshlrev_b32_e32 v56, 1, v165
	v_add_co_ci_u32_e32 v51, vcc_lo, s13, v41, vcc_lo
	v_add_co_u32 v52, vcc_lo, 0x3810, v50
	v_lshlrev_b64 v[48:49], 4, v[56:57]
	v_add_co_ci_u32_e32 v53, vcc_lo, 0, v51, vcc_lo
	v_add_co_u32 v50, vcc_lo, 0x3800, v50
	v_add_co_ci_u32_e32 v51, vcc_lo, 0, v51, vcc_lo
	v_add_co_u32 v80, vcc_lo, s12, v48
	v_add_co_ci_u32_e32 v81, vcc_lo, s13, v49, vcc_lo
	v_lshlrev_b32_e32 v56, 1, v164
	v_add_co_u32 v106, vcc_lo, 0x3810, v80
	v_add_co_ci_u32_e32 v107, vcc_lo, 0, v81, vcc_lo
	v_add_co_u32 v82, vcc_lo, 0x3810, v132
	v_add_co_ci_u32_e32 v83, vcc_lo, 0, v133, vcc_lo
	;; [unrolled: 2-line block ×6, first 2 shown]
	v_lshlrev_b64 v[86:87], 4, v[56:57]
	v_add_co_u32 v98, vcc_lo, 0x3810, v128
	v_add_co_ci_u32_e32 v99, vcc_lo, 0, v129, vcc_lo
	v_add_co_u32 v94, vcc_lo, 0x3800, v128
	v_add_co_ci_u32_e32 v95, vcc_lo, 0, v129, vcc_lo
	v_add_co_u32 v104, vcc_lo, s12, v86
	v_lshlrev_b32_e32 v56, 1, v163
	v_add_co_ci_u32_e32 v105, vcc_lo, s13, v87, vcc_lo
	v_add_co_u32 v110, vcc_lo, 0x3800, v104
	v_lshlrev_b64 v[118:119], 4, v[56:57]
	v_add_co_ci_u32_e32 v111, vcc_lo, 0, v105, vcc_lo
	v_add_co_u32 v114, vcc_lo, 0x3810, v104
	v_add_co_ci_u32_e32 v115, vcc_lo, 0, v105, vcc_lo
	s_clause 0x9
	global_load_dwordx4 v[40:43], v[42:43], off offset:16
	global_load_dwordx4 v[44:47], v[44:45], off offset:16
	;; [unrolled: 1-line block ×10, first 2 shown]
	v_add_co_u32 v126, vcc_lo, s12, v118
	v_lshlrev_b32_e32 v56, 1, v162
	v_add_co_ci_u32_e32 v127, vcc_lo, s13, v119, vcc_lo
	v_add_co_u32 v118, vcc_lo, 0x3810, v126
	v_lshlrev_b64 v[124:125], 4, v[56:57]
	v_add_co_ci_u32_e32 v119, vcc_lo, 0, v127, vcc_lo
	v_add_co_u32 v126, vcc_lo, 0x3800, v126
	v_add_co_ci_u32_e32 v127, vcc_lo, 0, v127, vcc_lo
	v_add_co_u32 v56, vcc_lo, s12, v124
	v_add_co_ci_u32_e32 v132, vcc_lo, s13, v125, vcc_lo
	s_clause 0x5
	global_load_dwordx4 v[102:105], v[102:103], off offset:16
	global_load_dwordx4 v[106:109], v[106:107], off offset:16
	;; [unrolled: 1-line block ×6, first 2 shown]
	v_add_co_u32 v118, vcc_lo, 0x3800, v56
	v_add_co_ci_u32_e32 v119, vcc_lo, 0, v132, vcc_lo
	v_add_co_u32 v136, vcc_lo, 0x3810, v56
	v_lshlrev_b32_e32 v56, 1, v161
	v_add_co_ci_u32_e32 v137, vcc_lo, 0, v132, vcc_lo
	s_clause 0x1
	global_load_dwordx4 v[132:135], v[118:119], off offset:16
	global_load_dwordx4 v[142:145], v[136:137], off offset:16
	v_lshlrev_b64 v[56:57], 4, v[56:57]
	v_lshlrev_b64 v[120:121], 4, v[120:121]
	v_add_co_u32 v118, vcc_lo, s12, v56
	v_add_co_ci_u32_e32 v119, vcc_lo, s13, v57, vcc_lo
	v_add_co_u32 v56, vcc_lo, 0x3800, v118
	v_add_co_ci_u32_e32 v57, vcc_lo, 0, v119, vcc_lo
	;; [unrolled: 2-line block ×3, first 2 shown]
	s_clause 0x1
	global_load_dwordx4 v[146:149], v[56:57], off offset:16
	global_load_dwordx4 v[150:153], v[118:119], off offset:16
	v_mad_u64_u32 v[56:57], null, s8, v122, 0
	ds_read2_b64 v[154:157], v180 offset0:84 offset1:174
	ds_read2_b64 v[161:164], v186 offset0:88 offset1:178
	;; [unrolled: 1-line block ×6, first 2 shown]
	ds_read_b64 v[118:119], v141
	ds_read_b64 v[122:123], v140
	ds_read_b64 v[136:137], v139
	ds_read2_b64 v[174:177], v174 offset0:56 offset1:146
	ds_read2_b64 v[197:200], v184 offset0:60 offset1:150
	;; [unrolled: 1-line block ×4, first 2 shown]
	v_mul_hi_u32 v178, 0x91a2b3c5, v160
	ds_read_b64 v[138:139], v138
	ds_read_b64 v[140:141], v173
	ds_read_b64 v[158:159], v172
	ds_read_b64 v[165:166], v171
	v_mul_hi_u32 v171, 0x91a2b3c5, v213
	v_add_nc_u32_e32 v183, v167, v169
	v_mul_hi_u32 v172, 0x91a2b3c5, v236
	v_add3_u32 v57, v57, v212, v211
	v_lshrrev_b32_e32 v173, 9, v178
	v_add_nc_u32_e32 v178, v168, v209
	ds_read_b64 v[167:168], v170
	v_lshlrev_b64 v[56:57], 4, v[56:57]
	v_lshrrev_b32_e32 v237, 9, v172
	v_mul_u32_u24_e32 v173, 0x384, v173
	ds_read_b64 v[169:170], v178
	v_lshrrev_b32_e32 v178, 9, v171
	ds_read_b64 v[171:172], v183
	v_add_co_u32 v221, vcc_lo, s10, v56
	v_sub_nc_u32_e32 v173, v160, v173
	v_mul_u32_u24_e32 v209, 0x384, v178
	v_add_co_ci_u32_e32 v222, vcc_lo, s11, v57, vcc_lo
	v_mul_u32_u24_e32 v238, 0x384, v237
	v_mad_u64_u32 v[183:184], null, s2, v173, 0
	v_sub_nc_u32_e32 v211, v213, v209
	v_add_nc_u32_e32 v218, 0x384, v173
	v_add_nc_u32_e32 v220, 0x708, v173
	v_mad_u32_u24 v239, 0xa8c, v178, v211
	v_mad_u64_u32 v[209:210], null, s2, v218, 0
	v_mad_u64_u32 v[211:212], null, s2, v220, 0
	v_mov_b32_e32 v56, v184
	v_mad_u64_u32 v[213:214], null, s2, v239, 0
	v_add_nc_u32_e32 v178, 0x384, v239
	v_mad_u64_u32 v[215:216], null, s3, v173, v[56:57]
	v_mov_b32_e32 v56, v210
	v_mov_b32_e32 v57, v212
	v_mad_u64_u32 v[216:217], null, s2, v178, 0
	v_mov_b32_e32 v173, v214
	v_mad_u64_u32 v[218:219], null, s3, v218, v[56:57]
	v_add_co_u32 v56, vcc_lo, v221, v120
	v_mad_u64_u32 v[219:220], null, s3, v220, v[57:58]
	v_add_co_ci_u32_e32 v57, vcc_lo, v222, v121, vcc_lo
	s_waitcnt lgkmcnt(10)
	v_mad_u64_u32 v[120:121], null, s3, v239, v[173:174]
	v_mov_b32_e32 v121, v217
	v_mov_b32_e32 v210, v218
	v_mov_b32_e32 v184, v215
	v_mov_b32_e32 v212, v219
	v_mad_u64_u32 v[217:218], null, s3, v178, v[121:122]
	v_lshlrev_b64 v[183:184], 4, v[183:184]
	v_lshlrev_b64 v[209:210], 4, v[209:210]
	;; [unrolled: 1-line block ×3, first 2 shown]
	v_add_co_u32 v183, vcc_lo, v56, v183
	v_add_co_ci_u32_e32 v184, vcc_lo, v57, v184, vcc_lo
	v_add_co_u32 v209, vcc_lo, v56, v209
	v_add_co_ci_u32_e32 v210, vcc_lo, v57, v210, vcc_lo
	s_waitcnt vmcnt(19)
	v_mul_f64 v[228:229], v[42:43], v[156:157]
	s_waitcnt vmcnt(13) lgkmcnt(8)
	v_mul_f64 v[220:221], v[88:89], v[203:204]
	v_mul_f64 v[214:215], v[80:81], v[174:175]
	;; [unrolled: 1-line block ×5, first 2 shown]
	s_waitcnt vmcnt(12) lgkmcnt(7)
	v_mul_f64 v[222:223], v[92:93], v[207:208]
	v_mul_f64 v[203:204], v[86:87], v[203:204]
	;; [unrolled: 1-line block ×3, first 2 shown]
	s_waitcnt vmcnt(11)
	v_mul_f64 v[224:225], v[96:97], v[201:202]
	s_waitcnt vmcnt(10)
	v_mul_f64 v[226:227], v[100:101], v[205:206]
	v_mul_f64 v[201:202], v[94:95], v[201:202]
	;; [unrolled: 1-line block ×10, first 2 shown]
	v_fma_f64 v[40:41], v[34:35], v[40:41], -v[228:229]
	v_fma_f64 v[78:79], v[0:1], v[78:79], -v[214:215]
	;; [unrolled: 1-line block ×3, first 2 shown]
	v_fma_f64 v[0:1], v[0:1], v[80:81], v[173:174]
	v_fma_f64 v[4:5], v[4:5], v[84:85], v[197:198]
	v_fma_f64 v[80:81], v[26:27], v[86:87], -v[220:221]
	v_fma_f64 v[84:85], v[30:31], v[90:91], -v[222:223]
	v_fma_f64 v[26:27], v[26:27], v[88:89], v[203:204]
	v_fma_f64 v[30:31], v[30:31], v[92:93], v[207:208]
	v_fma_f64 v[86:87], v[24:25], v[94:95], -v[224:225]
	v_fma_f64 v[88:89], v[28:29], v[98:99], -v[226:227]
	v_fma_f64 v[24:25], v[24:25], v[96:97], v[201:202]
	s_waitcnt vmcnt(9)
	v_mul_f64 v[90:91], v[104:105], v[187:188]
	s_waitcnt vmcnt(8)
	v_mul_f64 v[92:93], v[108:109], v[191:192]
	v_mul_f64 v[94:95], v[102:103], v[187:188]
	v_mul_f64 v[96:97], v[106:107], v[191:192]
	v_fma_f64 v[28:29], v[28:29], v[100:101], v[205:206]
	s_waitcnt vmcnt(7)
	v_mul_f64 v[98:99], v[112:113], v[185:186]
	s_waitcnt vmcnt(6)
	v_mul_f64 v[100:101], v[116:117], v[189:190]
	v_mul_f64 v[173:174], v[110:111], v[185:186]
	;; [unrolled: 1-line block ×3, first 2 shown]
	s_waitcnt vmcnt(5)
	v_mul_f64 v[187:188], v[126:127], v[195:196]
	v_mul_f64 v[191:192], v[124:125], v[195:196]
	v_fma_f64 v[195:196], v[38:39], v[44:45], -v[230:231]
	v_fma_f64 v[34:35], v[34:35], v[42:43], v[156:157]
	v_fma_f64 v[38:39], v[38:39], v[46:47], v[163:164]
	s_waitcnt vmcnt(3)
	v_mul_f64 v[42:43], v[134:135], v[193:194]
	s_waitcnt vmcnt(2)
	v_mul_f64 v[44:45], v[144:145], v[179:180]
	v_mul_f64 v[46:47], v[132:133], v[193:194]
	;; [unrolled: 1-line block ×3, first 2 shown]
	v_fma_f64 v[48:49], v[32:33], v[48:49], -v[232:233]
	v_fma_f64 v[32:33], v[32:33], v[50:51], v[154:155]
	v_add_f64 v[50:51], v[0:1], v[4:5]
	s_waitcnt lgkmcnt(4)
	v_add_f64 v[193:194], v[26:27], v[158:159]
	v_add_f64 v[197:198], v[80:81], v[84:85]
	v_add_f64 v[201:202], v[86:87], -v[88:89]
	v_add_f64 v[207:208], v[86:87], v[88:89]
	v_add_f64 v[86:87], v[72:73], v[86:87]
	s_waitcnt vmcnt(1)
	v_mul_f64 v[214:215], v[148:149], v[176:177]
	s_waitcnt vmcnt(0)
	v_mul_f64 v[218:219], v[152:153], v[199:200]
	v_mul_f64 v[175:176], v[146:147], v[176:177]
	;; [unrolled: 1-line block ×3, first 2 shown]
	v_fma_f64 v[90:91], v[18:19], v[102:103], -v[90:91]
	v_fma_f64 v[92:93], v[22:23], v[106:107], -v[92:93]
	v_fma_f64 v[18:19], v[18:19], v[104:105], v[94:95]
	v_fma_f64 v[22:23], v[22:23], v[108:109], v[96:97]
	v_mul_f64 v[189:190], v[130:131], v[181:182]
	v_mul_f64 v[181:182], v[128:129], v[181:182]
	v_fma_f64 v[52:53], v[36:37], v[52:53], -v[234:235]
	v_fma_f64 v[36:37], v[36:37], v[54:55], v[161:162]
	v_add_f64 v[54:55], v[78:79], -v[82:83]
	v_add_f64 v[154:155], v[0:1], v[140:141]
	v_add_f64 v[161:162], v[78:79], v[82:83]
	v_add_f64 v[163:164], v[0:1], -v[4:5]
	v_add_f64 v[0:1], v[76:77], v[78:79]
	v_add_f64 v[78:79], v[80:81], -v[84:85]
	v_add_f64 v[80:81], v[74:75], v[80:81]
	s_waitcnt lgkmcnt(3)
	v_add_f64 v[205:206], v[24:25], v[165:166]
	v_fma_f64 v[94:95], v[16:17], v[110:111], -v[98:99]
	v_fma_f64 v[96:97], v[20:21], v[114:115], -v[100:101]
	v_fma_f64 v[20:21], v[20:21], v[116:117], v[185:186]
	v_fma_f64 v[98:99], v[10:11], v[124:125], -v[187:188]
	v_add_f64 v[106:107], v[34:35], v[38:39]
	s_waitcnt lgkmcnt(2)
	v_add_f64 v[108:109], v[34:35], v[167:168]
	v_add_f64 v[110:111], v[40:41], v[195:196]
	v_fma_f64 v[114:115], v[8:9], v[132:133], -v[42:43]
	v_fma_f64 v[116:117], v[12:13], v[142:143], -v[44:45]
	v_fma_f64 v[8:9], v[8:9], v[134:135], v[46:47]
	v_fma_f64 v[124:125], v[12:13], v[144:145], v[156:157]
	v_add_f64 v[178:179], v[26:27], v[30:31]
	v_add_f64 v[203:204], v[24:25], v[28:29]
	v_add_f64 v[26:27], v[26:27], -v[30:31]
	v_fma_f64 v[16:17], v[16:17], v[112:113], v[173:174]
	v_fma_f64 v[134:135], v[50:51], -0.5, v[140:141]
	v_add_f64 v[46:47], v[30:31], v[193:194]
	v_fma_f64 v[30:31], v[197:198], -0.5, v[74:75]
	v_add_f64 v[12:13], v[86:87], v[88:89]
	v_fma_f64 v[140:141], v[6:7], v[150:151], -v[218:219]
	v_fma_f64 v[86:87], v[2:3], v[148:149], v[175:176]
	v_fma_f64 v[142:143], v[6:7], v[152:153], v[199:200]
	v_add_f64 v[6:7], v[18:19], v[22:23]
	v_fma_f64 v[100:101], v[14:15], v[128:129], -v[189:190]
	v_fma_f64 v[102:103], v[14:15], v[130:131], v[181:182]
	v_add_f64 v[104:105], v[40:41], -v[195:196]
	v_add_f64 v[34:35], v[34:35], -v[38:39]
	v_add_f64 v[44:45], v[80:81], v[84:85]
	v_add_f64 v[14:15], v[28:29], v[205:206]
	v_fma_f64 v[84:85], v[2:3], v[146:147], -v[214:215]
	v_fma_f64 v[106:107], v[106:107], -0.5, v[167:168]
	v_add_f64 v[2:3], v[38:39], v[108:109]
	v_fma_f64 v[38:39], v[110:111], -0.5, v[68:69]
	v_add_f64 v[110:111], v[8:9], v[124:125]
	v_add_f64 v[167:168], v[114:115], v[116:117]
	v_add_f64 v[24:25], v[24:25], -v[28:29]
	v_fma_f64 v[10:11], v[10:11], v[126:127], v[191:192]
	v_add_f64 v[130:131], v[32:33], v[118:119]
	v_add_f64 v[132:133], v[48:49], v[52:53]
	;; [unrolled: 1-line block ×3, first 2 shown]
	v_fma_f64 v[4:5], v[161:162], -0.5, v[76:77]
	v_fma_f64 v[76:77], v[178:179], -0.5, v[158:159]
	;; [unrolled: 1-line block ×4, first 2 shown]
	v_add_f64 v[112:113], v[68:69], v[40:41]
	v_add_f64 v[126:127], v[48:49], -v[52:53]
	v_add_f64 v[48:49], v[70:71], v[48:49]
	v_add_f64 v[144:145], v[90:91], -v[92:93]
	v_add_f64 v[88:89], v[18:19], v[122:123]
	s_waitcnt lgkmcnt(1)
	v_add_f64 v[152:153], v[16:17], v[169:170]
	v_add_f64 v[154:155], v[94:95], v[96:97]
	v_fma_f64 v[68:69], v[26:27], s[6:7], v[30:31]
	v_fma_f64 v[72:73], v[26:27], s[4:5], v[30:31]
	s_waitcnt lgkmcnt(0)
	v_add_f64 v[30:31], v[86:87], v[171:172]
	v_fma_f64 v[121:122], v[6:7], -0.5, v[122:123]
	v_add_f64 v[108:109], v[114:115], -v[116:117]
	v_add_f64 v[175:176], v[8:9], -v[124:125]
	v_add_f64 v[114:115], v[62:63], v[114:115]
	global_store_dwordx4 v[183:184], v[12:15], off
	v_fma_f64 v[6:7], v[104:105], s[4:5], v[106:107]
	v_fma_f64 v[14:15], v[104:105], s[6:7], v[106:107]
	v_fma_f64 v[104:105], v[110:111], -0.5, v[138:139]
	v_fma_f64 v[62:63], v[167:168], -0.5, v[62:63]
	v_add_f64 v[128:129], v[32:33], v[36:37]
	v_add_f64 v[32:33], v[32:33], -v[36:37]
	v_add_f64 v[40:41], v[0:1], v[82:83]
	v_add_f64 v[146:147], v[90:91], v[92:93]
	v_add_f64 v[148:149], v[18:19], -v[22:23]
	v_add_f64 v[18:19], v[66:67], v[90:91]
	v_add_f64 v[150:151], v[94:95], -v[96:97]
	;; [unrolled: 2-line block ×3, first 2 shown]
	v_add_f64 v[16:17], v[60:61], v[94:95]
	v_add_f64 v[94:95], v[10:11], v[102:103]
	;; [unrolled: 1-line block ×3, first 2 shown]
	v_add_f64 v[173:174], v[10:11], -v[102:103]
	v_add_f64 v[10:11], v[36:37], v[130:131]
	v_fma_f64 v[36:37], v[132:133], -0.5, v[70:71]
	v_fma_f64 v[70:71], v[78:79], s[4:5], v[76:77]
	v_fma_f64 v[74:75], v[78:79], s[6:7], v[76:77]
	;; [unrolled: 1-line block ×6, first 2 shown]
	v_add_f64 v[0:1], v[112:113], v[195:196]
	v_add_f64 v[112:113], v[8:9], v[138:139]
	;; [unrolled: 1-line block ×3, first 2 shown]
	v_fma_f64 v[48:49], v[163:164], s[6:7], v[4:5]
	v_fma_f64 v[52:53], v[163:164], s[4:5], v[4:5]
	v_add_f64 v[28:29], v[86:87], v[142:143]
	v_add_f64 v[132:133], v[86:87], -v[142:143]
	v_add_f64 v[86:87], v[20:21], v[152:153]
	v_fma_f64 v[152:153], v[154:155], -0.5, v[60:61]
	v_fma_f64 v[4:5], v[34:35], s[6:7], v[38:39]
	v_fma_f64 v[12:13], v[34:35], s[4:5], v[38:39]
	v_add_f64 v[60:61], v[142:143], v[30:31]
	v_fma_f64 v[30:31], v[144:145], s[4:5], v[121:122]
	v_fma_f64 v[34:35], v[144:145], s[6:7], v[121:122]
	v_add_nc_u32_e32 v122, 0x708, v239
	v_fma_f64 v[106:107], v[108:109], s[4:5], v[104:105]
	v_fma_f64 v[110:111], v[108:109], s[6:7], v[104:105]
	;; [unrolled: 1-line block ×4, first 2 shown]
	v_add_co_u32 v62, vcc_lo, v56, v211
	v_add_co_ci_u32_e32 v63, vcc_lo, v57, v212, vcc_lo
	v_mov_b32_e32 v214, v120
	v_mad_u64_u32 v[120:121], null, s2, v122, 0
	v_sub_nc_u32_e32 v123, v236, v238
	global_store_dwordx4 v[209:210], v[80:83], off
	global_store_dwordx4 v[62:63], v[76:79], off
	v_lshlrev_b64 v[62:63], 4, v[213:214]
	v_lshlrev_b64 v[76:77], 4, v[216:217]
	v_mad_u32_u24 v123, 0xa8c, v237, v123
	v_mov_b32_e32 v80, v121
	v_add_f64 v[24:25], v[18:19], v[92:93]
	v_fma_f64 v[92:93], v[90:91], -0.5, v[169:170]
	v_add_co_u32 v62, vcc_lo, v56, v62
	v_add_f64 v[90:91], v[124:125], v[112:113]
	v_mad_u64_u32 v[78:79], null, s2, v123, 0
	v_add_co_ci_u32_e32 v63, vcc_lo, v57, v63, vcc_lo
	v_mad_u64_u32 v[80:81], null, s3, v122, v[80:81]
	v_add_nc_u32_e32 v124, 0x10e, v160
	v_add_co_u32 v76, vcc_lo, v56, v76
	v_add_nc_u32_e32 v122, 0x384, v123
	v_add_co_ci_u32_e32 v77, vcc_lo, v57, v77, vcc_lo
	global_store_dwordx4 v[62:63], v[44:47], off
	v_mul_hi_u32 v47, 0x91a2b3c5, v124
	v_mad_u64_u32 v[81:82], null, s3, v123, v[79:80]
	v_mad_u64_u32 v[82:83], null, s2, v122, 0
	global_store_dwordx4 v[76:77], v[72:75], off
	v_add_nc_u32_e32 v74, 0x708, v123
	v_mov_b32_e32 v121, v80
	v_lshrrev_b32_e32 v75, 9, v47
	v_mov_b32_e32 v79, v81
	v_add_f64 v[130:131], v[84:85], v[140:141]
	v_mad_u64_u32 v[62:63], null, s2, v74, 0
	v_lshlrev_b64 v[44:45], 4, v[120:121]
	v_mov_b32_e32 v46, v83
	v_mul_u32_u24_e32 v76, 0x384, v75
	v_lshlrev_b64 v[72:73], 4, v[78:79]
	v_fma_f64 v[50:51], v[54:55], s[4:5], v[134:135]
	v_fma_f64 v[54:55], v[54:55], s[6:7], v[134:135]
	v_add_co_u32 v44, vcc_lo, v56, v44
	v_mad_u64_u32 v[46:47], null, s3, v122, v[46:47]
	v_mov_b32_e32 v47, v63
	v_sub_nc_u32_e32 v63, v124, v76
	v_add_co_ci_u32_e32 v45, vcc_lo, v57, v45, vcc_lo
	v_add_co_u32 v72, vcc_lo, v56, v72
	v_mad_u32_u24 v76, 0xa8c, v75, v63
	global_store_dwordx4 v[44:45], v[68:71], off
	v_add_nc_u32_e32 v68, 0x168, v160
	v_mov_b32_e32 v83, v46
	v_mad_u64_u32 v[46:47], null, s3, v74, v[47:48]
	v_add_co_ci_u32_e32 v73, vcc_lo, v57, v73, vcc_lo
	v_mad_u64_u32 v[74:75], null, s2, v76, 0
	v_add_nc_u32_e32 v47, 0x384, v76
	v_mul_hi_u32 v45, 0x91a2b3c5, v68
	global_store_dwordx4 v[72:73], v[40:43], off
	v_mov_b32_e32 v63, v46
	v_lshlrev_b64 v[40:41], 4, v[82:83]
	v_mad_u64_u32 v[43:44], null, s2, v47, 0
	v_mov_b32_e32 v42, v75
	v_fma_f64 v[118:119], v[128:129], -0.5, v[118:119]
	v_lshrrev_b32_e32 v69, 9, v45
	v_add_f64 v[128:129], v[84:85], -v[140:141]
	v_add_f64 v[134:135], v[58:59], v[84:85]
	v_add_f64 v[26:27], v[22:23], v[88:89]
	;; [unrolled: 1-line block ×3, first 2 shown]
	v_fma_f64 v[112:113], v[28:29], -0.5, v[171:172]
	v_fma_f64 v[116:117], v[130:131], -0.5, v[58:59]
	v_lshlrev_b64 v[45:46], 4, v[62:63]
	v_mad_u64_u32 v[62:63], null, s3, v76, v[42:43]
	v_add_co_u32 v40, vcc_lo, v56, v40
	v_mov_b32_e32 v42, v44
	v_mul_u32_u24_e32 v63, 0x384, v69
	v_add_co_ci_u32_e32 v41, vcc_lo, v57, v41, vcc_lo
	v_add_co_u32 v44, vcc_lo, v56, v45
	v_add_co_ci_u32_e32 v45, vcc_lo, v57, v46, vcc_lo
	v_mad_u64_u32 v[46:47], null, s3, v47, v[42:43]
	v_sub_nc_u32_e32 v42, v68, v63
	global_store_dwordx4 v[40:41], v[52:55], off
	global_store_dwordx4 v[44:45], v[48:51], off
	v_add_nc_u32_e32 v49, 0x708, v76
	v_add_nc_u32_e32 v53, 0x1c2, v160
	v_mov_b32_e32 v75, v62
	v_mad_u32_u24 v52, 0xa8c, v69, v42
	v_mov_b32_e32 v44, v46
	v_mad_u64_u32 v[45:46], null, s2, v49, 0
	v_fma_f64 v[18:19], v[126:127], s[4:5], v[118:119]
	v_mad_u64_u32 v[47:48], null, s2, v52, 0
	v_fma_f64 v[22:23], v[126:127], s[6:7], v[118:119]
	v_add_f64 v[58:59], v[134:135], v[140:141]
	v_fma_f64 v[114:115], v[128:129], s[4:5], v[112:113]
	v_fma_f64 v[118:119], v[128:129], s[6:7], v[112:113]
	;; [unrolled: 1-line block ×4, first 2 shown]
	v_mul_hi_u32 v51, 0x91a2b3c5, v53
	v_lshlrev_b64 v[43:44], 4, v[43:44]
	v_mov_b32_e32 v42, v46
	v_lshlrev_b64 v[40:41], 4, v[74:75]
	v_mov_b32_e32 v46, v48
	v_add_nc_u32_e32 v54, 0x384, v52
	v_add_f64 v[165:166], v[98:99], v[100:101]
	v_mad_u64_u32 v[48:49], null, s3, v49, v[42:43]
	v_mad_u64_u32 v[49:50], null, s3, v52, v[46:47]
	v_add_co_u32 v40, vcc_lo, v56, v40
	v_lshrrev_b32_e32 v55, 9, v51
	v_add_co_ci_u32_e32 v41, vcc_lo, v57, v41, vcc_lo
	v_add_co_u32 v42, vcc_lo, v56, v43
	v_add_co_ci_u32_e32 v43, vcc_lo, v57, v44, vcc_lo
	v_mad_u64_u32 v[50:51], null, s2, v54, 0
	v_mul_u32_u24_e32 v44, 0x384, v55
	v_mov_b32_e32 v46, v48
	v_mov_b32_e32 v48, v49
	global_store_dwordx4 v[40:41], v[58:61], off
	global_store_dwordx4 v[42:43], v[116:119], off
	v_sub_nc_u32_e32 v49, v53, v44
	v_mov_b32_e32 v42, v51
	v_lshlrev_b64 v[43:44], 4, v[47:48]
	v_add_nc_u32_e32 v52, 0x708, v52
	v_lshlrev_b64 v[40:41], 4, v[45:46]
	v_mad_u32_u24 v55, 0xa8c, v55, v49
	v_add_nc_u32_e32 v60, 0x21c, v160
	v_add_f64 v[158:159], v[98:99], -v[100:101]
	v_mad_u64_u32 v[45:46], null, s3, v54, v[42:43]
	v_mad_u64_u32 v[46:47], null, s2, v52, 0
	;; [unrolled: 1-line block ×3, first 2 shown]
	v_add_co_u32 v40, vcc_lo, v56, v40
	v_add_co_ci_u32_e32 v41, vcc_lo, v57, v41, vcc_lo
	v_mov_b32_e32 v51, v45
	v_mov_b32_e32 v42, v47
	v_add_co_u32 v43, vcc_lo, v56, v43
	v_mov_b32_e32 v45, v49
	v_lshlrev_b64 v[49:50], 4, v[50:51]
	v_add_co_ci_u32_e32 v44, vcc_lo, v57, v44, vcc_lo
	v_mad_u64_u32 v[51:52], null, s3, v52, v[42:43]
	v_mad_u64_u32 v[52:53], null, s3, v55, v[45:46]
	v_add_nc_u32_e32 v45, 0x384, v55
	v_mul_hi_u32 v42, 0x91a2b3c5, v60
	v_add_co_u32 v53, vcc_lo, v56, v49
	v_add_f64 v[98:99], v[64:65], v[98:99]
	v_mad_u64_u32 v[58:59], null, s2, v45, 0
	v_mov_b32_e32 v49, v52
	v_add_f64 v[84:85], v[16:17], v[96:97]
	v_fma_f64 v[96:97], v[94:95], -0.5, v[136:137]
	v_fma_f64 v[136:137], v[165:166], -0.5, v[64:65]
	global_store_dwordx4 v[40:41], v[112:115], off
	global_store_dwordx4 v[43:44], v[88:91], off
	v_lshlrev_b64 v[43:44], 4, v[48:49]
	v_add_co_ci_u32_e32 v54, vcc_lo, v57, v50, vcc_lo
	v_mov_b32_e32 v47, v51
	v_lshrrev_b32_e32 v50, 9, v42
	v_mov_b32_e32 v42, v59
	v_add_nc_u32_e32 v51, 0x708, v55
	v_fma_f64 v[146:147], v[146:147], -0.5, v[66:67]
	v_lshlrev_b64 v[40:41], 4, v[46:47]
	v_mul_u32_u24_e32 v48, 0x384, v50
	v_mad_u64_u32 v[45:46], null, s3, v45, v[42:43]
	v_mad_u64_u32 v[46:47], null, s2, v51, 0
	v_sub_nc_u32_e32 v42, v60, v48
	v_add_co_u32 v40, vcc_lo, v56, v40
	v_add_co_ci_u32_e32 v41, vcc_lo, v57, v41, vcc_lo
	v_mov_b32_e32 v59, v45
	v_mad_u32_u24 v55, 0xa8c, v50, v42
	v_add_co_u32 v42, vcc_lo, v56, v43
	v_add_f64 v[66:67], v[102:103], v[161:162]
	v_add_f64 v[64:65], v[98:99], v[100:101]
	v_fma_f64 v[102:103], v[158:159], s[6:7], v[96:97]
	v_fma_f64 v[100:101], v[173:174], s[4:5], v[136:137]
	v_add_co_ci_u32_e32 v43, vcc_lo, v57, v44, vcc_lo
	v_mov_b32_e32 v44, v47
	v_lshlrev_b64 v[47:48], 4, v[58:59]
	v_mad_u64_u32 v[49:50], null, s2, v55, 0
	v_add_nc_u32_e32 v61, 0x276, v160
	v_mad_u64_u32 v[44:45], null, s3, v51, v[44:45]
	v_add_co_u32 v51, vcc_lo, v56, v47
	v_add_nc_u32_e32 v60, 0x384, v55
	v_add_co_ci_u32_e32 v52, vcc_lo, v57, v48, vcc_lo
	v_mul_hi_u32 v48, 0x91a2b3c5, v61
	v_mov_b32_e32 v45, v50
	global_store_dwordx4 v[53:54], v[108:111], off
	v_mad_u64_u32 v[53:54], null, s2, v60, 0
	v_mov_b32_e32 v47, v44
	v_mad_u64_u32 v[58:59], null, s3, v55, v[45:46]
	v_lshrrev_b32_e32 v45, 9, v48
	global_store_dwordx4 v[40:41], v[104:107], off
	global_store_dwordx4 v[42:43], v[64:67], off
	;; [unrolled: 1-line block ×3, first 2 shown]
	v_lshlrev_b64 v[40:41], 4, v[46:47]
	v_mov_b32_e32 v42, v54
	v_add_nc_u32_e32 v51, 0x708, v55
	v_mul_u32_u24_e32 v46, 0x384, v45
	v_fma_f64 v[98:99], v[158:159], s[4:5], v[96:97]
	v_fma_f64 v[96:97], v[173:174], s[6:7], v[136:137]
	v_mad_u64_u32 v[42:43], null, s3, v60, v[42:43]
	v_sub_nc_u32_e32 v46, v61, v46
	v_fma_f64 v[38:39], v[150:151], s[4:5], v[92:93]
	v_fma_f64 v[94:95], v[150:151], s[6:7], v[92:93]
	;; [unrolled: 1-line block ×3, first 2 shown]
	v_mov_b32_e32 v50, v58
	v_mad_u64_u32 v[43:44], null, s2, v51, 0
	v_mad_u32_u24 v55, 0xa8c, v45, v46
	v_mov_b32_e32 v54, v42
	v_lshlrev_b64 v[45:46], 4, v[49:50]
	v_add_nc_u32_e32 v58, 0x2d0, v160
	v_add_co_u32 v40, vcc_lo, v56, v40
	v_mad_u64_u32 v[47:48], null, s2, v55, 0
	v_mov_b32_e32 v42, v44
	v_lshlrev_b64 v[49:50], 4, v[53:54]
	v_add_co_ci_u32_e32 v41, vcc_lo, v57, v41, vcc_lo
	v_add_co_u32 v45, vcc_lo, v56, v45
	v_mul_hi_u32 v54, 0x91a2b3c5, v58
	v_add_co_ci_u32_e32 v46, vcc_lo, v57, v46, vcc_lo
	v_mad_u64_u32 v[51:52], null, s3, v51, v[42:43]
	v_mov_b32_e32 v42, v48
	v_add_co_u32 v48, vcc_lo, v56, v49
	v_add_co_ci_u32_e32 v49, vcc_lo, v57, v50, vcc_lo
	global_store_dwordx4 v[40:41], v[96:99], off
	global_store_dwordx4 v[45:46], v[84:87], off
	;; [unrolled: 1-line block ×3, first 2 shown]
	v_lshrrev_b32_e32 v49, 9, v54
	v_mad_u64_u32 v[52:53], null, s3, v55, v[42:43]
	v_mov_b32_e32 v44, v51
	v_add_nc_u32_e32 v50, 0x384, v55
	v_add_nc_u32_e32 v51, 0x708, v55
	v_mul_u32_u24_e32 v46, 0x384, v49
	v_fma_f64 v[16:17], v[32:33], s[6:7], v[36:37]
	v_lshlrev_b64 v[40:41], 4, v[43:44]
	v_mad_u64_u32 v[42:43], null, s2, v50, 0
	v_mad_u64_u32 v[44:45], null, s2, v51, 0
	v_fma_f64 v[20:21], v[32:33], s[4:5], v[36:37]
	v_fma_f64 v[36:37], v[156:157], s[6:7], v[152:153]
	v_mov_b32_e32 v48, v52
	v_sub_nc_u32_e32 v52, v58, v46
	v_add_nc_u32_e32 v53, 0x32a, v160
	v_add_co_u32 v40, vcc_lo, v56, v40
	v_lshlrev_b64 v[46:47], 4, v[47:48]
	v_mad_u32_u24 v52, 0xa8c, v49, v52
	v_mad_u64_u32 v[48:49], null, s3, v50, v[43:44]
	v_fma_f64 v[32:33], v[148:149], s[4:5], v[146:147]
	v_add_co_ci_u32_e32 v41, vcc_lo, v57, v41, vcc_lo
	v_mad_u64_u32 v[49:50], null, s3, v51, v[45:46]
	v_mad_u64_u32 v[50:51], null, s2, v52, 0
	v_mov_b32_e32 v43, v48
	v_mul_hi_u32 v48, 0x91a2b3c5, v53
	v_add_co_u32 v46, vcc_lo, v56, v46
	v_add_co_ci_u32_e32 v47, vcc_lo, v57, v47, vcc_lo
	v_fma_f64 v[28:29], v[148:149], s[6:7], v[146:147]
	global_store_dwordx4 v[40:41], v[36:39], off
	v_mov_b32_e32 v45, v49
	v_lshrrev_b32_e32 v38, 9, v48
	v_mov_b32_e32 v36, v51
	global_store_dwordx4 v[46:47], v[24:27], off
	v_lshlrev_b64 v[24:25], 4, v[42:43]
	v_lshlrev_b64 v[26:27], 4, v[44:45]
	v_mul_u32_u24_e32 v40, 0x384, v38
	v_mad_u64_u32 v[36:37], null, s3, v52, v[36:37]
	v_add_nc_u32_e32 v39, 0x384, v52
	v_add_co_u32 v24, vcc_lo, v56, v24
	v_add_co_ci_u32_e32 v25, vcc_lo, v57, v25, vcc_lo
	v_sub_nc_u32_e32 v40, v53, v40
	v_add_co_u32 v26, vcc_lo, v56, v26
	v_add_co_ci_u32_e32 v27, vcc_lo, v57, v27, vcc_lo
	v_mov_b32_e32 v51, v36
	v_mad_u64_u32 v[36:37], null, s2, v39, 0
	global_store_dwordx4 v[24:25], v[32:35], off
	v_mad_u32_u24 v34, 0xa8c, v38, v40
	global_store_dwordx4 v[26:27], v[28:31], off
	v_add_nc_u32_e32 v33, 0x708, v52
	v_lshlrev_b64 v[24:25], 4, v[50:51]
	v_mad_u64_u32 v[29:30], null, s2, v34, 0
	v_mov_b32_e32 v28, v37
	v_mad_u64_u32 v[26:27], null, s2, v33, 0
	v_add_nc_u32_e32 v40, 0x384, v34
	v_add_co_u32 v24, vcc_lo, v56, v24
	v_mad_u64_u32 v[31:32], null, s3, v39, v[28:29]
	v_add_nc_u32_e32 v41, 0x708, v34
	v_mad_u64_u32 v[27:28], null, s3, v33, v[27:28]
	v_mad_u64_u32 v[32:33], null, s2, v40, 0
	v_add_co_ci_u32_e32 v25, vcc_lo, v57, v25, vcc_lo
	v_mov_b32_e32 v37, v31
	v_mov_b32_e32 v28, v30
	v_mad_u64_u32 v[38:39], null, s2, v41, 0
	global_store_dwordx4 v[24:25], v[8:11], off
	v_lshlrev_b64 v[9:10], 4, v[36:37]
	v_mov_b32_e32 v8, v33
	v_mad_u64_u32 v[34:35], null, s3, v34, v[28:29]
	v_mad_u64_u32 v[24:25], null, s3, v40, v[8:9]
	v_mov_b32_e32 v8, v39
	v_add_co_u32 v9, vcc_lo, v56, v9
	v_mov_b32_e32 v30, v34
	v_lshlrev_b64 v[25:26], 4, v[26:27]
	v_add_co_ci_u32_e32 v10, vcc_lo, v57, v10, vcc_lo
	v_mad_u64_u32 v[27:28], null, s3, v41, v[8:9]
	v_lshlrev_b64 v[28:29], 4, v[29:30]
	v_mov_b32_e32 v33, v24
	v_add_co_u32 v24, vcc_lo, v56, v25
	v_add_co_ci_u32_e32 v25, vcc_lo, v57, v26, vcc_lo
	v_mov_b32_e32 v39, v27
	v_lshlrev_b64 v[30:31], 4, v[32:33]
	v_add_co_u32 v26, vcc_lo, v56, v28
	v_add_co_ci_u32_e32 v27, vcc_lo, v57, v29, vcc_lo
	v_lshlrev_b64 v[28:29], 4, v[38:39]
	v_add_co_u32 v30, vcc_lo, v56, v30
	v_add_co_ci_u32_e32 v31, vcc_lo, v57, v31, vcc_lo
	v_add_co_u32 v28, vcc_lo, v56, v28
	v_add_co_ci_u32_e32 v29, vcc_lo, v57, v29, vcc_lo
	global_store_dwordx4 v[9:10], v[20:23], off
	global_store_dwordx4 v[24:25], v[16:19], off
	;; [unrolled: 1-line block ×5, first 2 shown]
.LBB0_15:
	s_endpgm
	.section	.rodata,"a",@progbits
	.p2align	6, 0x0
	.amdhsa_kernel fft_rtc_fwd_len2700_factors_3_10_10_3_3_wgs_90_tpt_90_halfLds_dp_op_CI_CI_sbrr_dirReg
		.amdhsa_group_segment_fixed_size 0
		.amdhsa_private_segment_fixed_size 0
		.amdhsa_kernarg_size 104
		.amdhsa_user_sgpr_count 6
		.amdhsa_user_sgpr_private_segment_buffer 1
		.amdhsa_user_sgpr_dispatch_ptr 0
		.amdhsa_user_sgpr_queue_ptr 0
		.amdhsa_user_sgpr_kernarg_segment_ptr 1
		.amdhsa_user_sgpr_dispatch_id 0
		.amdhsa_user_sgpr_flat_scratch_init 0
		.amdhsa_user_sgpr_private_segment_size 0
		.amdhsa_wavefront_size32 1
		.amdhsa_uses_dynamic_stack 0
		.amdhsa_system_sgpr_private_segment_wavefront_offset 0
		.amdhsa_system_sgpr_workgroup_id_x 1
		.amdhsa_system_sgpr_workgroup_id_y 0
		.amdhsa_system_sgpr_workgroup_id_z 0
		.amdhsa_system_sgpr_workgroup_info 0
		.amdhsa_system_vgpr_workitem_id 0
		.amdhsa_next_free_vgpr 240
		.amdhsa_next_free_sgpr 31
		.amdhsa_reserve_vcc 1
		.amdhsa_reserve_flat_scratch 0
		.amdhsa_float_round_mode_32 0
		.amdhsa_float_round_mode_16_64 0
		.amdhsa_float_denorm_mode_32 3
		.amdhsa_float_denorm_mode_16_64 3
		.amdhsa_dx10_clamp 1
		.amdhsa_ieee_mode 1
		.amdhsa_fp16_overflow 0
		.amdhsa_workgroup_processor_mode 1
		.amdhsa_memory_ordered 1
		.amdhsa_forward_progress 0
		.amdhsa_shared_vgpr_count 0
		.amdhsa_exception_fp_ieee_invalid_op 0
		.amdhsa_exception_fp_denorm_src 0
		.amdhsa_exception_fp_ieee_div_zero 0
		.amdhsa_exception_fp_ieee_overflow 0
		.amdhsa_exception_fp_ieee_underflow 0
		.amdhsa_exception_fp_ieee_inexact 0
		.amdhsa_exception_int_div_zero 0
	.end_amdhsa_kernel
	.text
.Lfunc_end0:
	.size	fft_rtc_fwd_len2700_factors_3_10_10_3_3_wgs_90_tpt_90_halfLds_dp_op_CI_CI_sbrr_dirReg, .Lfunc_end0-fft_rtc_fwd_len2700_factors_3_10_10_3_3_wgs_90_tpt_90_halfLds_dp_op_CI_CI_sbrr_dirReg
                                        ; -- End function
	.section	.AMDGPU.csdata,"",@progbits
; Kernel info:
; codeLenInByte = 25312
; NumSgprs: 33
; NumVgprs: 240
; ScratchSize: 0
; MemoryBound: 1
; FloatMode: 240
; IeeeMode: 1
; LDSByteSize: 0 bytes/workgroup (compile time only)
; SGPRBlocks: 4
; VGPRBlocks: 29
; NumSGPRsForWavesPerEU: 33
; NumVGPRsForWavesPerEU: 240
; Occupancy: 4
; WaveLimiterHint : 1
; COMPUTE_PGM_RSRC2:SCRATCH_EN: 0
; COMPUTE_PGM_RSRC2:USER_SGPR: 6
; COMPUTE_PGM_RSRC2:TRAP_HANDLER: 0
; COMPUTE_PGM_RSRC2:TGID_X_EN: 1
; COMPUTE_PGM_RSRC2:TGID_Y_EN: 0
; COMPUTE_PGM_RSRC2:TGID_Z_EN: 0
; COMPUTE_PGM_RSRC2:TIDIG_COMP_CNT: 0
	.text
	.p2alignl 6, 3214868480
	.fill 48, 4, 3214868480
	.type	__hip_cuid_f34578b246e68c75,@object ; @__hip_cuid_f34578b246e68c75
	.section	.bss,"aw",@nobits
	.globl	__hip_cuid_f34578b246e68c75
__hip_cuid_f34578b246e68c75:
	.byte	0                               ; 0x0
	.size	__hip_cuid_f34578b246e68c75, 1

	.ident	"AMD clang version 19.0.0git (https://github.com/RadeonOpenCompute/llvm-project roc-6.4.0 25133 c7fe45cf4b819c5991fe208aaa96edf142730f1d)"
	.section	".note.GNU-stack","",@progbits
	.addrsig
	.addrsig_sym __hip_cuid_f34578b246e68c75
	.amdgpu_metadata
---
amdhsa.kernels:
  - .args:
      - .actual_access:  read_only
        .address_space:  global
        .offset:         0
        .size:           8
        .value_kind:     global_buffer
      - .offset:         8
        .size:           8
        .value_kind:     by_value
      - .actual_access:  read_only
        .address_space:  global
        .offset:         16
        .size:           8
        .value_kind:     global_buffer
      - .actual_access:  read_only
        .address_space:  global
        .offset:         24
        .size:           8
        .value_kind:     global_buffer
      - .actual_access:  read_only
        .address_space:  global
        .offset:         32
        .size:           8
        .value_kind:     global_buffer
      - .offset:         40
        .size:           8
        .value_kind:     by_value
      - .actual_access:  read_only
        .address_space:  global
        .offset:         48
        .size:           8
        .value_kind:     global_buffer
      - .actual_access:  read_only
        .address_space:  global
        .offset:         56
        .size:           8
        .value_kind:     global_buffer
      - .offset:         64
        .size:           4
        .value_kind:     by_value
      - .actual_access:  read_only
        .address_space:  global
        .offset:         72
        .size:           8
        .value_kind:     global_buffer
      - .actual_access:  read_only
        .address_space:  global
        .offset:         80
        .size:           8
        .value_kind:     global_buffer
      - .actual_access:  read_only
        .address_space:  global
        .offset:         88
        .size:           8
        .value_kind:     global_buffer
      - .actual_access:  write_only
        .address_space:  global
        .offset:         96
        .size:           8
        .value_kind:     global_buffer
    .group_segment_fixed_size: 0
    .kernarg_segment_align: 8
    .kernarg_segment_size: 104
    .language:       OpenCL C
    .language_version:
      - 2
      - 0
    .max_flat_workgroup_size: 90
    .name:           fft_rtc_fwd_len2700_factors_3_10_10_3_3_wgs_90_tpt_90_halfLds_dp_op_CI_CI_sbrr_dirReg
    .private_segment_fixed_size: 0
    .sgpr_count:     33
    .sgpr_spill_count: 0
    .symbol:         fft_rtc_fwd_len2700_factors_3_10_10_3_3_wgs_90_tpt_90_halfLds_dp_op_CI_CI_sbrr_dirReg.kd
    .uniform_work_group_size: 1
    .uses_dynamic_stack: false
    .vgpr_count:     240
    .vgpr_spill_count: 0
    .wavefront_size: 32
    .workgroup_processor_mode: 1
amdhsa.target:   amdgcn-amd-amdhsa--gfx1030
amdhsa.version:
  - 1
  - 2
...

	.end_amdgpu_metadata
